;; amdgpu-corpus repo=ROCm/rocFFT kind=compiled arch=gfx1100 opt=O3
	.text
	.amdgcn_target "amdgcn-amd-amdhsa--gfx1100"
	.amdhsa_code_object_version 6
	.protected	bluestein_single_fwd_len2028_dim1_dp_op_CI_CI ; -- Begin function bluestein_single_fwd_len2028_dim1_dp_op_CI_CI
	.globl	bluestein_single_fwd_len2028_dim1_dp_op_CI_CI
	.p2align	8
	.type	bluestein_single_fwd_len2028_dim1_dp_op_CI_CI,@function
bluestein_single_fwd_len2028_dim1_dp_op_CI_CI: ; @bluestein_single_fwd_len2028_dim1_dp_op_CI_CI
; %bb.0:
	s_load_b128 s[16:19], s[0:1], 0x28
	v_mul_u32_u24_e32 v1, 0x1a5, v0
	s_mov_b32 s2, exec_lo
	v_mov_b32_e32 v7, 0
	s_delay_alu instid0(VALU_DEP_2) | instskip(NEXT) | instid1(VALU_DEP_1)
	v_lshrrev_b32_e32 v1, 16, v1
	v_add_nc_u32_e32 v6, s15, v1
	s_waitcnt lgkmcnt(0)
	s_delay_alu instid0(VALU_DEP_1)
	v_cmpx_gt_u64_e64 s[16:17], v[6:7]
	s_cbranch_execz .LBB0_18
; %bb.1:
	s_clause 0x1
	s_load_b128 s[4:7], s[0:1], 0x18
	s_load_b128 s[8:11], s[0:1], 0x0
	v_mul_lo_u16 v1, 0x9c, v1
	v_mov_b32_e32 v4, v6
	s_mov_b32 s26, 0x42a4c3d2
	s_mov_b32 s24, 0x66966769
	;; [unrolled: 1-line block ×3, first 2 shown]
	v_sub_nc_u16 v24, v0, v1
	scratch_store_b64 off, v[4:5], off      ; 8-byte Folded Spill
	s_mov_b32 s20, 0x24c2f84
	s_mov_b32 s31, 0xbfddbe06
	;; [unrolled: 1-line block ×3, first 2 shown]
	v_and_b32_e32 v200, 0xffff, v24
	s_mov_b32 s27, 0xbfea55e2
	s_mov_b32 s25, 0xbfefc445
	;; [unrolled: 1-line block ×7, first 2 shown]
	s_waitcnt lgkmcnt(0)
	s_load_b128 s[12:15], s[4:5], 0x0
	s_mov_b32 s17, 0x3fbedb7d
	s_mov_b32 s37, 0x3fe5384d
	;; [unrolled: 1-line block ×7, first 2 shown]
	s_waitcnt lgkmcnt(0)
	v_mad_u64_u32 v[0:1], null, s14, v6, 0
	v_mad_u64_u32 v[2:3], null, s12, v200, 0
	s_mul_i32 s2, s13, 0x9c0
	s_mul_hi_u32 s4, s12, 0x9c0
	s_mul_i32 s3, s12, 0x9c0
	s_add_i32 s2, s4, s2
	s_delay_alu instid0(VALU_DEP_1) | instskip(SKIP_2) | instid1(VALU_DEP_1)
	v_mad_u64_u32 v[4:5], null, s15, v6, v[1:2]
	s_mov_b32 s14, 0x4bc48dbf
	s_mov_b32 s15, 0xbfcea1e5
	v_mov_b32_e32 v1, v4
	v_mad_u64_u32 v[5:6], null, s13, v200, v[3:4]
	v_lshlrev_b32_e32 v252, 4, v200
	s_mov_b32 s12, 0xb2365da1
	s_delay_alu instid0(VALU_DEP_3) | instskip(SKIP_1) | instid1(VALU_DEP_2)
	v_lshlrev_b64 v[0:1], 4, v[0:1]
	s_mov_b32 s13, 0xbfd6b1d8
	v_add_co_u32 v26, s4, s8, v252
	s_delay_alu instid0(VALU_DEP_4) | instskip(NEXT) | instid1(VALU_DEP_3)
	v_mov_b32_e32 v3, v5
	v_add_co_u32 v0, vcc_lo, s18, v0
	s_delay_alu instid0(VALU_DEP_4) | instskip(NEXT) | instid1(VALU_DEP_3)
	v_add_co_ci_u32_e32 v1, vcc_lo, s19, v1, vcc_lo
	v_lshlrev_b64 v[2:3], 4, v[2:3]
	v_add_co_ci_u32_e64 v27, null, s9, 0, s4
	s_mov_b32 s18, 0x1ea71119
	s_mov_b32 s19, 0x3fe22d96
	s_delay_alu instid0(VALU_DEP_2) | instskip(NEXT) | instid1(VALU_DEP_3)
	v_add_co_u32 v4, vcc_lo, v0, v2
	v_add_co_ci_u32_e32 v5, vcc_lo, v1, v3, vcc_lo
	global_load_b128 v[28:31], v252, s[8:9]
	global_load_b128 v[0:3], v[4:5], off
	v_add_co_u32 v8, vcc_lo, v4, s3
	v_add_co_ci_u32_e32 v9, vcc_lo, s2, v5, vcc_lo
	global_load_b128 v[32:35], v252, s[8:9] offset:2496
	global_load_b128 v[4:7], v[8:9], off
	v_add_co_u32 v12, vcc_lo, v8, s3
	v_add_co_ci_u32_e32 v13, vcc_lo, s2, v9, vcc_lo
	v_add_co_u32 v14, vcc_lo, 0x1000, v26
	v_add_co_ci_u32_e32 v15, vcc_lo, 0, v27, vcc_lo
	global_load_b128 v[8:11], v[12:13], off
	s_clause 0x1
	global_load_b128 v[36:39], v[14:15], off offset:896
	global_load_b128 v[40:43], v[14:15], off offset:3392
	s_mov_b32 s8, 0xd0032e0c
	s_mov_b32 s9, 0xbfe7f3cc
	s_waitcnt vmcnt(6)
	scratch_store_b128 off, v[28:31], off offset:8 ; 16-byte Folded Spill
	s_waitcnt vmcnt(5)
	v_mul_f64 v[16:17], v[2:3], v[30:31]
	v_mul_f64 v[18:19], v[0:1], v[30:31]
	s_waitcnt vmcnt(4)
	scratch_store_b128 off, v[32:35], off offset:24 ; 16-byte Folded Spill
	s_waitcnt vmcnt(3)
	v_mul_f64 v[20:21], v[6:7], v[34:35]
	s_waitcnt vmcnt(1)
	v_mul_f64 v[14:15], v[10:11], v[38:39]
	scratch_store_b128 off, v[36:39], off offset:40 ; 16-byte Folded Spill
	s_waitcnt vmcnt(0)
	scratch_store_b128 off, v[40:43], off offset:56 ; 16-byte Folded Spill
	v_fma_f64 v[0:1], v[0:1], v[28:29], v[16:17]
	v_mul_f64 v[16:17], v[4:5], v[34:35]
	v_fma_f64 v[2:3], v[2:3], v[28:29], -v[18:19]
	v_add_co_u32 v18, vcc_lo, v12, s3
	v_add_co_ci_u32_e32 v19, vcc_lo, s2, v13, vcc_lo
	v_fma_f64 v[4:5], v[4:5], v[32:33], v[20:21]
	s_delay_alu instid0(VALU_DEP_3) | instskip(NEXT) | instid1(VALU_DEP_3)
	v_add_co_u32 v20, vcc_lo, v18, s3
	v_add_co_ci_u32_e32 v21, vcc_lo, s2, v19, vcc_lo
	v_fma_f64 v[6:7], v[6:7], v[32:33], -v[16:17]
	v_mul_f64 v[16:17], v[8:9], v[38:39]
	v_fma_f64 v[8:9], v[8:9], v[36:37], v[14:15]
	global_load_b128 v[12:15], v[18:19], off
	v_fma_f64 v[10:11], v[10:11], v[36:37], -v[16:17]
	global_load_b128 v[16:19], v[20:21], off
	s_waitcnt vmcnt(1)
	v_mul_f64 v[22:23], v[14:15], v[42:43]
	v_mul_f64 v[28:29], v[12:13], v[42:43]
	s_delay_alu instid0(VALU_DEP_2) | instskip(SKIP_2) | instid1(VALU_DEP_4)
	v_fma_f64 v[12:13], v[12:13], v[40:41], v[22:23]
	v_add_co_u32 v22, vcc_lo, 0x2000, v26
	v_add_co_ci_u32_e32 v23, vcc_lo, 0, v27, vcc_lo
	v_fma_f64 v[14:15], v[14:15], v[40:41], -v[28:29]
	global_load_b128 v[30:33], v[22:23], off offset:1792
	s_waitcnt vmcnt(0)
	v_mul_f64 v[28:29], v[16:17], v[32:33]
	v_mul_f64 v[22:23], v[18:19], v[32:33]
	scratch_store_b128 off, v[30:33], off offset:72 ; 16-byte Folded Spill
	v_fma_f64 v[18:19], v[18:19], v[30:31], -v[28:29]
	v_add_co_u32 v28, vcc_lo, v20, s3
	v_add_co_ci_u32_e32 v29, vcc_lo, s2, v21, vcc_lo
	v_add_co_u32 v20, vcc_lo, 0x3000, v26
	v_add_co_ci_u32_e32 v21, vcc_lo, 0, v27, vcc_lo
	v_fma_f64 v[16:17], v[16:17], v[30:31], v[22:23]
	s_clause 0x1
	global_load_b128 v[34:37], v[20:21], off offset:192
	global_load_b128 v[38:41], v[20:21], off offset:2688
	global_load_b128 v[20:23], v[28:29], off
	s_waitcnt vmcnt(2)
	scratch_store_b128 off, v[34:37], off offset:88 ; 16-byte Folded Spill
	s_waitcnt vmcnt(1)
	scratch_store_b128 off, v[38:41], off offset:104 ; 16-byte Folded Spill
	s_waitcnt vmcnt(0)
	v_mul_f64 v[32:33], v[20:21], v[36:37]
	v_mul_f64 v[30:31], v[22:23], v[36:37]
	s_delay_alu instid0(VALU_DEP_2) | instskip(SKIP_2) | instid1(VALU_DEP_4)
	v_fma_f64 v[22:23], v[22:23], v[34:35], -v[32:33]
	v_add_co_u32 v32, vcc_lo, v28, s3
	v_add_co_ci_u32_e32 v33, vcc_lo, s2, v29, vcc_lo
	v_fma_f64 v[20:21], v[20:21], v[34:35], v[30:31]
	global_load_b128 v[28:31], v[32:33], off
	s_waitcnt vmcnt(0)
	v_mul_f64 v[36:37], v[28:29], v[40:41]
	v_mul_f64 v[34:35], v[30:31], v[40:41]
	s_delay_alu instid0(VALU_DEP_2)
	v_fma_f64 v[30:31], v[30:31], v[38:39], -v[36:37]
	v_add_co_u32 v36, vcc_lo, v32, s3
	v_add_co_ci_u32_e32 v37, vcc_lo, s2, v33, vcc_lo
	v_add_co_u32 v32, vcc_lo, 0x4000, v26
	v_add_co_ci_u32_e32 v33, vcc_lo, 0, v27, vcc_lo
	v_fma_f64 v[28:29], v[28:29], v[38:39], v[34:35]
	s_clause 0x1
	global_load_b128 v[42:45], v[32:33], off offset:1088
	global_load_b128 v[46:49], v[32:33], off offset:3584
	global_load_b128 v[32:35], v[36:37], off
	s_waitcnt vmcnt(2)
	scratch_store_b128 off, v[42:45], off offset:120 ; 16-byte Folded Spill
	s_waitcnt vmcnt(1)
	scratch_store_b128 off, v[46:49], off offset:136 ; 16-byte Folded Spill
	s_waitcnt vmcnt(0)
	v_mul_f64 v[40:41], v[32:33], v[44:45]
	v_mul_f64 v[38:39], v[34:35], v[44:45]
	s_delay_alu instid0(VALU_DEP_2) | instskip(SKIP_2) | instid1(VALU_DEP_4)
	v_fma_f64 v[34:35], v[34:35], v[42:43], -v[40:41]
	v_add_co_u32 v40, vcc_lo, v36, s3
	v_add_co_ci_u32_e32 v41, vcc_lo, s2, v37, vcc_lo
	v_fma_f64 v[32:33], v[32:33], v[42:43], v[38:39]
	global_load_b128 v[36:39], v[40:41], off
	s_waitcnt vmcnt(0)
	v_mul_f64 v[44:45], v[36:37], v[48:49]
	v_mul_f64 v[42:43], v[38:39], v[48:49]
	s_delay_alu instid0(VALU_DEP_2)
	v_fma_f64 v[38:39], v[38:39], v[46:47], -v[44:45]
	v_add_co_u32 v44, vcc_lo, v40, s3
	v_add_co_ci_u32_e32 v45, vcc_lo, s2, v41, vcc_lo
	v_add_co_u32 v40, vcc_lo, 0x5000, v26
	v_add_co_ci_u32_e32 v41, vcc_lo, 0, v27, vcc_lo
	v_fma_f64 v[36:37], v[36:37], v[46:47], v[42:43]
	global_load_b128 v[50:53], v[40:41], off offset:1984
	global_load_b128 v[40:43], v[44:45], off
	s_waitcnt vmcnt(1)
	scratch_store_b128 off, v[50:53], off offset:152 ; 16-byte Folded Spill
	s_waitcnt vmcnt(0)
	v_mul_f64 v[48:49], v[40:41], v[52:53]
	v_mul_f64 v[46:47], v[42:43], v[52:53]
	s_delay_alu instid0(VALU_DEP_2)
	v_fma_f64 v[42:43], v[42:43], v[50:51], -v[48:49]
	v_add_co_u32 v48, vcc_lo, v44, s3
	v_add_co_ci_u32_e32 v49, vcc_lo, s2, v45, vcc_lo
	v_add_co_u32 v44, vcc_lo, 0x6000, v26
	v_add_co_ci_u32_e32 v45, vcc_lo, 0, v27, vcc_lo
	v_fma_f64 v[40:41], v[40:41], v[50:51], v[46:47]
	s_clause 0x1
	global_load_b128 v[54:57], v[44:45], off offset:384
	global_load_b128 v[58:61], v[44:45], off offset:2880
	global_load_b128 v[44:47], v[48:49], off
	s_waitcnt vmcnt(2)
	scratch_store_b128 off, v[54:57], off offset:168 ; 16-byte Folded Spill
	s_waitcnt vmcnt(1)
	scratch_store_b128 off, v[58:61], off offset:184 ; 16-byte Folded Spill
	s_waitcnt vmcnt(0)
	v_mul_f64 v[52:53], v[44:45], v[56:57]
	v_mul_f64 v[50:51], v[46:47], v[56:57]
	s_delay_alu instid0(VALU_DEP_2) | instskip(SKIP_2) | instid1(VALU_DEP_4)
	v_fma_f64 v[46:47], v[46:47], v[54:55], -v[52:53]
	v_add_co_u32 v52, vcc_lo, v48, s3
	v_add_co_ci_u32_e32 v53, vcc_lo, s2, v49, vcc_lo
	v_fma_f64 v[44:45], v[44:45], v[54:55], v[50:51]
	global_load_b128 v[48:51], v[52:53], off
	v_add_co_u32 v52, vcc_lo, v52, s3
	v_add_co_ci_u32_e32 v53, vcc_lo, s2, v53, vcc_lo
	s_mov_b32 s2, 0x93053d00
	s_mov_b32 s3, 0xbfef11f4
	s_waitcnt vmcnt(0)
	v_mul_f64 v[56:57], v[48:49], v[60:61]
	v_mul_f64 v[54:55], v[50:51], v[60:61]
	s_delay_alu instid0(VALU_DEP_2) | instskip(SKIP_2) | instid1(VALU_DEP_4)
	v_fma_f64 v[50:51], v[50:51], v[58:59], -v[56:57]
	v_add_co_u32 v56, vcc_lo, 0x7000, v26
	v_add_co_ci_u32_e32 v57, vcc_lo, 0, v27, vcc_lo
	v_fma_f64 v[48:49], v[48:49], v[58:59], v[54:55]
	global_load_b128 v[52:55], v[52:53], off
	v_cmp_gt_u16_e32 vcc_lo, 39, v24
	global_load_b128 v[60:63], v[56:57], off offset:1280
	scratch_store_b64 off, v[56:57], off offset:384 ; 8-byte Folded Spill
	s_waitcnt vmcnt(0)
	scratch_store_b128 off, v[60:63], off offset:200 ; 16-byte Folded Spill
	v_mul_f64 v[56:57], v[54:55], v[62:63]
	v_mul_f64 v[58:59], v[52:53], v[62:63]
	s_delay_alu instid0(VALU_DEP_2) | instskip(NEXT) | instid1(VALU_DEP_2)
	v_fma_f64 v[52:53], v[52:53], v[60:61], v[56:57]
	v_fma_f64 v[54:55], v[54:55], v[60:61], -v[58:59]
	ds_store_b128 v252, v[0:3]
	ds_store_b128 v252, v[4:7] offset:2496
	ds_store_b128 v252, v[8:11] offset:4992
	;; [unrolled: 1-line block ×12, first 2 shown]
	s_load_b128 s[4:7], s[6:7], 0x0
	s_waitcnt lgkmcnt(0)
	s_waitcnt_vscnt null, 0x0
	s_barrier
	buffer_gl0_inv
	ds_load_b128 v[52:55], v252
	ds_load_b128 v[56:59], v252 offset:2496
	ds_load_b128 v[60:63], v252 offset:4992
	;; [unrolled: 1-line block ×7, first 2 shown]
	s_waitcnt lgkmcnt(6)
	v_add_f64 v[0:1], v[52:53], v[56:57]
	v_add_f64 v[2:3], v[54:55], v[58:59]
	s_waitcnt lgkmcnt(5)
	s_delay_alu instid0(VALU_DEP_2) | instskip(NEXT) | instid1(VALU_DEP_2)
	v_add_f64 v[0:1], v[0:1], v[60:61]
	v_add_f64 v[2:3], v[2:3], v[62:63]
	s_waitcnt lgkmcnt(4)
	s_delay_alu instid0(VALU_DEP_2) | instskip(NEXT) | instid1(VALU_DEP_2)
	;; [unrolled: 4-line block ×5, first 2 shown]
	v_add_f64 v[12:13], v[0:1], v[4:5]
	v_add_f64 v[14:15], v[2:3], v[6:7]
	s_waitcnt lgkmcnt(0)
	v_add_f64 v[0:1], v[4:5], v[8:9]
	v_add_f64 v[2:3], v[6:7], v[10:11]
	v_add_f64 v[4:5], v[4:5], -v[8:9]
	v_add_f64 v[6:7], v[6:7], -v[10:11]
	v_add_f64 v[20:21], v[12:13], v[8:9]
	v_add_f64 v[22:23], v[14:15], v[10:11]
	ds_load_b128 v[12:15], v252 offset:19968
	ds_load_b128 v[28:31], v252 offset:22464
	v_mul_f64 v[140:141], v[4:5], s[20:21]
	v_mul_f64 v[138:139], v[6:7], s[20:21]
	;; [unrolled: 1-line block ×4, first 2 shown]
	s_waitcnt lgkmcnt(1)
	v_add_f64 v[8:9], v[72:73], v[12:13]
	v_add_f64 v[10:11], v[74:75], v[14:15]
	v_add_f64 v[16:17], v[72:73], -v[12:13]
	v_add_f64 v[18:19], v[74:75], -v[14:15]
	v_add_f64 v[32:33], v[20:21], v[12:13]
	v_add_f64 v[34:35], v[22:23], v[14:15]
	s_waitcnt lgkmcnt(0)
	v_add_f64 v[12:13], v[68:69], v[28:29]
	v_add_f64 v[14:15], v[70:71], v[30:31]
	v_add_f64 v[20:21], v[68:69], -v[28:29]
	v_add_f64 v[22:23], v[70:71], -v[30:31]
	v_mul_f64 v[116:117], v[16:17], s[34:35]
	v_mul_f64 v[114:115], v[18:19], s[34:35]
	;; [unrolled: 1-line block ×4, first 2 shown]
	v_add_f64 v[36:37], v[32:33], v[28:29]
	v_add_f64 v[38:39], v[34:35], v[30:31]
	ds_load_b128 v[28:31], v252 offset:24960
	ds_load_b128 v[32:35], v252 offset:27456
	v_mul_f64 v[112:113], v[20:21], s[36:37]
	v_mul_f64 v[110:111], v[22:23], s[36:37]
	;; [unrolled: 1-line block ×4, first 2 shown]
	s_waitcnt lgkmcnt(1)
	v_add_f64 v[72:73], v[64:65], v[28:29]
	v_add_f64 v[74:75], v[66:67], v[30:31]
	v_add_f64 v[76:77], v[64:65], -v[28:29]
	v_add_f64 v[78:79], v[66:67], -v[30:31]
	s_waitcnt lgkmcnt(0)
	v_add_f64 v[80:81], v[60:61], -v[32:33]
	v_add_f64 v[82:83], v[62:63], -v[34:35]
	v_add_f64 v[84:85], v[60:61], v[32:33]
	v_add_f64 v[86:87], v[62:63], v[34:35]
	;; [unrolled: 1-line block ×4, first 2 shown]
	v_mul_f64 v[128:129], v[76:77], s[38:39]
	v_mul_f64 v[126:127], v[78:79], s[38:39]
	;; [unrolled: 1-line block ×6, first 2 shown]
	s_mov_b32 s37, 0x3fcea1e5
	s_mov_b32 s36, s14
	;; [unrolled: 1-line block ×3, first 2 shown]
	v_mul_f64 v[154:155], v[18:19], s[36:37]
	v_mul_f64 v[156:157], v[16:17], s[36:37]
	s_mov_b32 s38, s26
	v_mul_f64 v[162:163], v[80:81], s[34:35]
	v_mul_f64 v[158:159], v[6:7], s[38:39]
	v_mul_f64 v[160:161], v[4:5], s[38:39]
	v_add_f64 v[32:33], v[28:29], v[32:33]
	v_add_f64 v[34:35], v[30:31], v[34:35]
	ds_load_b128 v[28:31], v252 offset:29952
	v_mul_f64 v[164:165], v[76:77], s[26:27]
	v_mul_f64 v[166:167], v[22:23], s[36:37]
	v_mul_f64 v[168:169], v[20:21], s[36:37]
	s_waitcnt lgkmcnt(0)
	s_barrier
	buffer_gl0_inv
	v_add_f64 v[36:37], v[58:59], -v[30:31]
	v_add_f64 v[38:39], v[56:57], -v[28:29]
	v_add_f64 v[40:41], v[56:57], v[28:29]
	v_add_f64 v[42:43], v[58:59], v[30:31]
	;; [unrolled: 1-line block ×4, first 2 shown]
	v_mul_f64 v[32:33], v[36:37], s[30:31]
	v_mul_f64 v[34:35], v[36:37], s[26:27]
	;; [unrolled: 1-line block ×10, first 2 shown]
	v_fma_f64 v[50:51], v[40:41], s[28:29], -v[32:33]
	v_fma_f64 v[32:33], v[40:41], s[28:29], v[32:33]
	v_fma_f64 v[56:57], v[40:41], s[18:19], -v[34:35]
	v_fma_f64 v[34:35], v[40:41], s[18:19], v[34:35]
	;; [unrolled: 2-line block ×6, first 2 shown]
	v_mul_f64 v[40:41], v[38:39], s[30:31]
	v_fma_f64 v[94:95], v[42:43], s[16:17], v[68:69]
	v_mul_f64 v[38:39], v[38:39], s[14:15]
	v_fma_f64 v[92:93], v[42:43], s[18:19], v[66:67]
	v_fma_f64 v[96:97], v[42:43], s[12:13], v[70:71]
	;; [unrolled: 1-line block ×3, first 2 shown]
	v_fma_f64 v[66:67], v[42:43], s[18:19], -v[66:67]
	v_fma_f64 v[68:69], v[42:43], s[16:17], -v[68:69]
	;; [unrolled: 1-line block ×4, first 2 shown]
	s_mov_b32 s31, 0x3fddbe06
	s_delay_alu instid0(SALU_CYCLE_1)
	v_mul_f64 v[118:119], v[6:7], s[30:31]
	v_mul_f64 v[120:121], v[4:5], s[30:31]
	;; [unrolled: 1-line block ×10, first 2 shown]
	v_add_f64 v[102:103], v[52:53], v[50:51]
	v_add_f64 v[104:105], v[52:53], v[32:33]
	;; [unrolled: 1-line block ×3, first 2 shown]
	v_fma_f64 v[90:91], v[42:43], s[28:29], v[40:41]
	v_fma_f64 v[40:41], v[42:43], s[28:29], -v[40:41]
	v_add_f64 v[50:51], v[54:55], v[94:95]
	v_mul_f64 v[94:95], v[82:83], s[22:23]
	v_fma_f64 v[100:101], v[42:43], s[2:3], v[38:39]
	v_fma_f64 v[38:39], v[42:43], s[2:3], -v[38:39]
	v_add_f64 v[42:43], v[52:53], v[58:59]
	v_add_f64 v[56:57], v[54:55], v[96:97]
	;; [unrolled: 1-line block ×3, first 2 shown]
	v_mul_f64 v[96:97], v[80:81], s[22:23]
	v_mul_f64 v[98:99], v[78:79], s[14:15]
	v_add_f64 v[108:109], v[54:55], v[66:67]
	v_add_f64 v[66:67], v[52:53], v[44:45]
	;; [unrolled: 1-line block ×10, first 2 shown]
	v_mul_f64 v[80:81], v[80:81], s[26:27]
	v_add_f64 v[90:91], v[54:55], v[90:91]
	v_add_f64 v[106:107], v[54:55], v[40:41]
	;; [unrolled: 1-line block ×4, first 2 shown]
	v_fma_f64 v[34:35], v[84:85], s[12:13], -v[94:95]
	v_add_f64 v[64:65], v[54:55], v[100:101]
	v_add_f64 v[52:53], v[52:53], v[36:37]
	v_mul_f64 v[100:101], v[76:77], s[14:15]
	v_add_f64 v[54:55], v[54:55], v[38:39]
	v_fma_f64 v[38:39], v[86:87], s[2:3], v[124:125]
	v_fma_f64 v[36:37], v[72:73], s[2:3], -v[98:99]
	v_add_f64 v[32:33], v[34:35], v[32:33]
	v_fma_f64 v[34:35], v[86:87], s[12:13], v[96:97]
	s_delay_alu instid0(VALU_DEP_4) | instskip(NEXT) | instid1(VALU_DEP_3)
	v_add_f64 v[38:39], v[38:39], v[50:51]
	v_add_f64 v[32:33], v[36:37], v[32:33]
	s_delay_alu instid0(VALU_DEP_3) | instskip(SKIP_2) | instid1(VALU_DEP_2)
	v_add_f64 v[34:35], v[34:35], v[40:41]
	v_fma_f64 v[36:37], v[74:75], s[2:3], v[100:101]
	v_fma_f64 v[40:41], v[72:73], s[12:13], -v[126:127]
	v_add_f64 v[34:35], v[36:37], v[34:35]
	v_fma_f64 v[36:37], v[12:13], s[8:9], -v[110:111]
	s_delay_alu instid0(VALU_DEP_1) | instskip(SKIP_1) | instid1(VALU_DEP_1)
	v_add_f64 v[32:33], v[36:37], v[32:33]
	v_fma_f64 v[36:37], v[14:15], s[8:9], v[112:113]
	v_add_f64 v[34:35], v[36:37], v[34:35]
	v_fma_f64 v[36:37], v[8:9], s[16:17], -v[114:115]
	s_delay_alu instid0(VALU_DEP_1) | instskip(SKIP_1) | instid1(VALU_DEP_1)
	v_add_f64 v[32:33], v[36:37], v[32:33]
	v_fma_f64 v[36:37], v[10:11], s[16:17], v[116:117]
	;; [unrolled: 5-line block ×3, first 2 shown]
	v_add_f64 v[34:35], v[36:37], v[34:35]
	v_fma_f64 v[36:37], v[84:85], s[2:3], -v[122:123]
	s_delay_alu instid0(VALU_DEP_1) | instskip(SKIP_1) | instid1(VALU_DEP_2)
	v_add_f64 v[36:37], v[36:37], v[42:43]
	v_fma_f64 v[42:43], v[86:87], s[8:9], v[144:145]
	v_add_f64 v[36:37], v[40:41], v[36:37]
	v_fma_f64 v[40:41], v[74:75], s[12:13], v[128:129]
	s_delay_alu instid0(VALU_DEP_3) | instskip(SKIP_2) | instid1(VALU_DEP_4)
	v_add_f64 v[42:43], v[42:43], v[56:57]
	v_mul_f64 v[56:57], v[82:83], s[34:35]
	v_mul_f64 v[82:83], v[82:83], s[26:27]
	v_add_f64 v[38:39], v[40:41], v[38:39]
	v_fma_f64 v[40:41], v[12:13], s[28:29], -v[130:131]
	s_delay_alu instid0(VALU_DEP_1) | instskip(SKIP_1) | instid1(VALU_DEP_1)
	v_add_f64 v[36:37], v[40:41], v[36:37]
	v_fma_f64 v[40:41], v[14:15], s[28:29], v[132:133]
	v_add_f64 v[38:39], v[40:41], v[38:39]
	v_fma_f64 v[40:41], v[8:9], s[18:19], -v[134:135]
	s_delay_alu instid0(VALU_DEP_1) | instskip(SKIP_1) | instid1(VALU_DEP_1)
	v_add_f64 v[36:37], v[40:41], v[36:37]
	v_fma_f64 v[40:41], v[10:11], s[18:19], v[136:137]
	v_add_f64 v[38:39], v[40:41], v[38:39]
	v_fma_f64 v[40:41], v[0:1], s[8:9], -v[138:139]
	s_delay_alu instid0(VALU_DEP_1) | instskip(SKIP_1) | instid1(VALU_DEP_1)
	v_add_f64 v[36:37], v[40:41], v[36:37]
	v_fma_f64 v[40:41], v[2:3], s[8:9], v[140:141]
	v_add_f64 v[38:39], v[40:41], v[38:39]
	v_fma_f64 v[40:41], v[84:85], s[8:9], -v[142:143]
	s_delay_alu instid0(VALU_DEP_1) | instskip(SKIP_1) | instid1(VALU_DEP_1)
	v_add_f64 v[40:41], v[40:41], v[44:45]
	v_fma_f64 v[44:45], v[72:73], s[28:29], -v[146:147]
	v_add_f64 v[40:41], v[44:45], v[40:41]
	v_fma_f64 v[44:45], v[74:75], s[28:29], v[148:149]
	s_delay_alu instid0(VALU_DEP_1) | instskip(SKIP_1) | instid1(VALU_DEP_1)
	v_add_f64 v[42:43], v[44:45], v[42:43]
	v_fma_f64 v[44:45], v[12:13], s[16:17], -v[150:151]
	v_add_f64 v[40:41], v[44:45], v[40:41]
	v_fma_f64 v[44:45], v[14:15], s[16:17], v[152:153]
	;; [unrolled: 5-line block ×4, first 2 shown]
	s_delay_alu instid0(VALU_DEP_1) | instskip(SKIP_2) | instid1(VALU_DEP_2)
	v_add_f64 v[42:43], v[44:45], v[42:43]
	v_fma_f64 v[44:45], v[84:85], s[16:17], -v[56:57]
	v_fma_f64 v[56:57], v[84:85], s[16:17], v[56:57]
	v_add_f64 v[44:45], v[44:45], v[46:47]
	v_fma_f64 v[46:47], v[86:87], s[16:17], v[162:163]
	s_delay_alu instid0(VALU_DEP_3) | instskip(SKIP_1) | instid1(VALU_DEP_3)
	v_add_f64 v[56:57], v[56:57], v[62:63]
	v_fma_f64 v[62:63], v[86:87], s[16:17], -v[162:163]
	v_add_f64 v[46:47], v[46:47], v[58:59]
	v_mul_f64 v[58:59], v[78:79], s[26:27]
	s_delay_alu instid0(VALU_DEP_3) | instskip(SKIP_1) | instid1(VALU_DEP_3)
	v_add_f64 v[62:63], v[62:63], v[88:89]
	v_fma_f64 v[88:89], v[72:73], s[2:3], v[98:99]
	v_fma_f64 v[50:51], v[72:73], s[18:19], -v[58:59]
	v_fma_f64 v[58:59], v[72:73], s[18:19], v[58:59]
	s_delay_alu instid0(VALU_DEP_2) | instskip(SKIP_1) | instid1(VALU_DEP_3)
	v_add_f64 v[44:45], v[50:51], v[44:45]
	v_fma_f64 v[50:51], v[74:75], s[18:19], v[164:165]
	v_add_f64 v[56:57], v[58:59], v[56:57]
	v_fma_f64 v[58:59], v[74:75], s[18:19], -v[164:165]
	s_delay_alu instid0(VALU_DEP_3) | instskip(SKIP_1) | instid1(VALU_DEP_3)
	v_add_f64 v[46:47], v[50:51], v[46:47]
	v_fma_f64 v[50:51], v[12:13], s[2:3], -v[166:167]
	v_add_f64 v[58:59], v[58:59], v[62:63]
	v_fma_f64 v[62:63], v[12:13], s[2:3], v[166:167]
	s_delay_alu instid0(VALU_DEP_3) | instskip(SKIP_1) | instid1(VALU_DEP_3)
	v_add_f64 v[44:45], v[50:51], v[44:45]
	v_fma_f64 v[50:51], v[14:15], s[2:3], v[168:169]
	v_add_f64 v[56:57], v[62:63], v[56:57]
	v_fma_f64 v[62:63], v[14:15], s[2:3], -v[168:169]
	s_delay_alu instid0(VALU_DEP_3) | instskip(SKIP_1) | instid1(VALU_DEP_3)
	v_add_f64 v[46:47], v[50:51], v[46:47]
	v_fma_f64 v[50:51], v[8:9], s[28:29], -v[170:171]
	v_add_f64 v[58:59], v[62:63], v[58:59]
	v_fma_f64 v[62:63], v[8:9], s[28:29], v[170:171]
	s_delay_alu instid0(VALU_DEP_3) | instskip(SKIP_1) | instid1(VALU_DEP_3)
	;; [unrolled: 10-line block ×3, first 2 shown]
	v_add_f64 v[44:45], v[50:51], v[44:45]
	v_fma_f64 v[50:51], v[2:3], s[12:13], v[176:177]
	v_add_f64 v[56:57], v[62:63], v[56:57]
	v_fma_f64 v[62:63], v[84:85], s[8:9], v[142:143]
	s_delay_alu instid0(VALU_DEP_3) | instskip(SKIP_2) | instid1(VALU_DEP_4)
	v_add_f64 v[46:47], v[50:51], v[46:47]
	v_fma_f64 v[50:51], v[84:85], s[28:29], -v[178:179]
	v_fma_f64 v[178:179], v[84:85], s[28:29], v[178:179]
	v_add_f64 v[60:61], v[62:63], v[60:61]
	v_fma_f64 v[62:63], v[86:87], s[8:9], -v[144:145]
	s_delay_alu instid0(VALU_DEP_4)
	v_add_f64 v[48:49], v[50:51], v[48:49]
	v_fma_f64 v[50:51], v[86:87], s[28:29], v[180:181]
	v_add_f64 v[52:53], v[178:179], v[52:53]
	v_fma_f64 v[178:179], v[86:87], s[28:29], -v[180:181]
	v_add_f64 v[62:63], v[62:63], v[70:71]
	v_fma_f64 v[70:71], v[2:3], s[18:19], -v[160:161]
                                        ; implicit-def: $vgpr160_vgpr161
	v_add_f64 v[50:51], v[50:51], v[64:65]
	v_mul_f64 v[64:65], v[78:79], s[20:21]
	v_add_f64 v[54:55], v[178:179], v[54:55]
	v_mul_f64 v[78:79], v[78:79], s[24:25]
	s_delay_alu instid0(VALU_DEP_3) | instskip(SKIP_1) | instid1(VALU_DEP_2)
	v_fma_f64 v[182:183], v[72:73], s[8:9], -v[64:65]
	v_fma_f64 v[64:65], v[72:73], s[8:9], v[64:65]
	v_add_f64 v[48:49], v[182:183], v[48:49]
	v_mul_f64 v[182:183], v[76:77], s[20:21]
	s_delay_alu instid0(VALU_DEP_3) | instskip(SKIP_1) | instid1(VALU_DEP_3)
	v_add_f64 v[52:53], v[64:65], v[52:53]
	v_mul_f64 v[76:77], v[76:77], s[24:25]
	v_fma_f64 v[184:185], v[74:75], s[8:9], v[182:183]
	v_fma_f64 v[64:65], v[74:75], s[8:9], -v[182:183]
	s_delay_alu instid0(VALU_DEP_2) | instskip(SKIP_1) | instid1(VALU_DEP_3)
	v_add_f64 v[50:51], v[184:185], v[50:51]
	v_mul_f64 v[184:185], v[22:23], s[38:39]
	v_add_f64 v[54:55], v[64:65], v[54:55]
	v_mul_f64 v[22:23], v[22:23], s[22:23]
	s_delay_alu instid0(VALU_DEP_3) | instskip(SKIP_1) | instid1(VALU_DEP_2)
	v_fma_f64 v[186:187], v[12:13], s[18:19], -v[184:185]
	v_fma_f64 v[64:65], v[12:13], s[18:19], v[184:185]
	v_add_f64 v[48:49], v[186:187], v[48:49]
	v_mul_f64 v[186:187], v[20:21], s[38:39]
	s_delay_alu instid0(VALU_DEP_3) | instskip(SKIP_1) | instid1(VALU_DEP_3)
	v_add_f64 v[52:53], v[64:65], v[52:53]
	v_mul_f64 v[20:21], v[20:21], s[22:23]
	v_fma_f64 v[188:189], v[14:15], s[18:19], v[186:187]
	v_fma_f64 v[64:65], v[14:15], s[18:19], -v[186:187]
	s_delay_alu instid0(VALU_DEP_2) | instskip(SKIP_1) | instid1(VALU_DEP_3)
	;; [unrolled: 15-line block ×3, first 2 shown]
	v_add_f64 v[50:51], v[192:193], v[50:51]
	v_mul_f64 v[192:193], v[6:7], s[34:35]
	v_add_f64 v[54:55], v[64:65], v[54:55]
	s_delay_alu instid0(VALU_DEP_2) | instskip(SKIP_1) | instid1(VALU_DEP_2)
	v_fma_f64 v[64:65], v[0:1], s[16:17], v[192:193]
	v_fma_f64 v[194:195], v[0:1], s[16:17], -v[192:193]
	v_add_f64 v[52:53], v[64:65], v[52:53]
	v_fma_f64 v[64:65], v[2:3], s[12:13], -v[176:177]
	s_delay_alu instid0(VALU_DEP_3) | instskip(SKIP_1) | instid1(VALU_DEP_3)
	v_add_f64 v[48:49], v[194:195], v[48:49]
	v_mul_f64 v[194:195], v[4:5], s[34:35]
	v_add_f64 v[58:59], v[64:65], v[58:59]
	v_fma_f64 v[64:65], v[72:73], s[28:29], v[146:147]
	s_delay_alu instid0(VALU_DEP_3) | instskip(SKIP_1) | instid1(VALU_DEP_3)
	v_fma_f64 v[196:197], v[2:3], s[16:17], v[194:195]
	v_fma_f64 v[178:179], v[2:3], s[16:17], -v[194:195]
	v_add_f64 v[60:61], v[64:65], v[60:61]
	v_fma_f64 v[64:65], v[74:75], s[28:29], -v[148:149]
	s_delay_alu instid0(VALU_DEP_4) | instskip(NEXT) | instid1(VALU_DEP_4)
	v_add_f64 v[50:51], v[196:197], v[50:51]
	v_add_f64 v[54:55], v[178:179], v[54:55]
	s_delay_alu instid0(VALU_DEP_3) | instskip(SKIP_1) | instid1(VALU_DEP_1)
	v_add_f64 v[62:63], v[64:65], v[62:63]
	v_fma_f64 v[64:65], v[12:13], s[16:17], v[150:151]
	v_add_f64 v[60:61], v[64:65], v[60:61]
	v_fma_f64 v[64:65], v[14:15], s[16:17], -v[152:153]
                                        ; implicit-def: $vgpr152_vgpr153
	s_delay_alu instid0(VALU_DEP_1) | instskip(SKIP_1) | instid1(VALU_DEP_1)
	v_add_f64 v[62:63], v[64:65], v[62:63]
	v_fma_f64 v[64:65], v[8:9], s[2:3], v[154:155]
	v_add_f64 v[60:61], v[64:65], v[60:61]
	v_fma_f64 v[64:65], v[10:11], s[2:3], -v[156:157]
                                        ; implicit-def: $vgpr156_vgpr157
	s_delay_alu instid0(VALU_DEP_1) | instskip(SKIP_1) | instid1(VALU_DEP_2)
	v_add_f64 v[62:63], v[64:65], v[62:63]
	v_fma_f64 v[64:65], v[0:1], s[18:19], v[158:159]
	v_add_f64 v[62:63], v[70:71], v[62:63]
	s_delay_alu instid0(VALU_DEP_2) | instskip(SKIP_2) | instid1(VALU_DEP_2)
	v_add_f64 v[60:61], v[64:65], v[60:61]
	v_fma_f64 v[64:65], v[84:85], s[2:3], v[122:123]
	v_fma_f64 v[70:71], v[2:3], s[8:9], -v[140:141]
	v_add_f64 v[64:65], v[64:65], v[66:67]
	v_fma_f64 v[66:67], v[86:87], s[2:3], -v[124:125]
	s_delay_alu instid0(VALU_DEP_1) | instskip(SKIP_1) | instid1(VALU_DEP_1)
	v_add_f64 v[66:67], v[66:67], v[68:69]
	v_fma_f64 v[68:69], v[72:73], s[12:13], v[126:127]
	v_add_f64 v[64:65], v[68:69], v[64:65]
	v_fma_f64 v[68:69], v[74:75], s[12:13], -v[128:129]
	s_delay_alu instid0(VALU_DEP_1) | instskip(SKIP_1) | instid1(VALU_DEP_1)
	v_add_f64 v[66:67], v[68:69], v[66:67]
	v_fma_f64 v[68:69], v[12:13], s[28:29], v[130:131]
	;; [unrolled: 5-line block ×3, first 2 shown]
	v_add_f64 v[64:65], v[68:69], v[64:65]
	v_fma_f64 v[68:69], v[10:11], s[18:19], -v[136:137]
	s_delay_alu instid0(VALU_DEP_1) | instskip(SKIP_1) | instid1(VALU_DEP_2)
	v_add_f64 v[66:67], v[68:69], v[66:67]
	v_fma_f64 v[68:69], v[0:1], s[8:9], v[138:139]
	v_add_f64 v[66:67], v[70:71], v[66:67]
	s_delay_alu instid0(VALU_DEP_2) | instskip(SKIP_3) | instid1(VALU_DEP_3)
	v_add_f64 v[64:65], v[68:69], v[64:65]
	v_fma_f64 v[68:69], v[84:85], s[12:13], v[94:95]
	v_fma_f64 v[70:71], v[86:87], s[12:13], -v[96:97]
	v_mul_f64 v[94:95], v[4:5], s[14:15]
	v_add_f64 v[68:69], v[68:69], v[92:93]
	s_delay_alu instid0(VALU_DEP_3) | instskip(SKIP_1) | instid1(VALU_DEP_3)
	v_add_f64 v[70:71], v[70:71], v[108:109]
	v_fma_f64 v[92:93], v[2:3], s[28:29], -v[120:121]
	v_add_f64 v[68:69], v[88:89], v[68:69]
	v_fma_f64 v[88:89], v[74:75], s[2:3], -v[100:101]
	s_delay_alu instid0(VALU_DEP_1) | instskip(SKIP_1) | instid1(VALU_DEP_1)
	v_add_f64 v[70:71], v[88:89], v[70:71]
	v_fma_f64 v[88:89], v[12:13], s[8:9], v[110:111]
	v_add_f64 v[68:69], v[88:89], v[68:69]
	v_fma_f64 v[88:89], v[14:15], s[8:9], -v[112:113]
	s_delay_alu instid0(VALU_DEP_1) | instskip(SKIP_1) | instid1(VALU_DEP_1)
	v_add_f64 v[70:71], v[88:89], v[70:71]
	v_fma_f64 v[88:89], v[8:9], s[16:17], v[114:115]
	v_add_f64 v[68:69], v[88:89], v[68:69]
	v_fma_f64 v[88:89], v[10:11], s[16:17], -v[116:117]
	s_delay_alu instid0(VALU_DEP_1) | instskip(SKIP_1) | instid1(VALU_DEP_2)
	v_add_f64 v[70:71], v[88:89], v[70:71]
	v_fma_f64 v[88:89], v[0:1], s[28:29], v[118:119]
	v_add_f64 v[70:71], v[92:93], v[70:71]
	s_delay_alu instid0(VALU_DEP_2) | instskip(SKIP_4) | instid1(VALU_DEP_4)
	v_add_f64 v[68:69], v[88:89], v[68:69]
	v_fma_f64 v[88:89], v[84:85], s[18:19], -v[82:83]
	v_fma_f64 v[92:93], v[86:87], s[18:19], v[80:81]
	v_fma_f64 v[82:83], v[84:85], s[18:19], v[82:83]
	v_fma_f64 v[80:81], v[86:87], s[18:19], -v[80:81]
	v_add_f64 v[88:89], v[88:89], v[102:103]
	s_delay_alu instid0(VALU_DEP_4) | instskip(SKIP_3) | instid1(VALU_DEP_3)
	v_add_f64 v[90:91], v[92:93], v[90:91]
	v_fma_f64 v[92:93], v[72:73], s[16:17], -v[78:79]
	v_fma_f64 v[72:73], v[72:73], s[16:17], v[78:79]
	v_add_f64 v[78:79], v[80:81], v[106:107]
	v_add_f64 v[88:89], v[92:93], v[88:89]
	v_fma_f64 v[92:93], v[74:75], s[16:17], v[76:77]
	v_fma_f64 v[74:75], v[74:75], s[16:17], -v[76:77]
	v_add_f64 v[76:77], v[82:83], v[104:105]
	s_delay_alu instid0(VALU_DEP_3) | instskip(SKIP_3) | instid1(VALU_DEP_3)
	v_add_f64 v[90:91], v[92:93], v[90:91]
	v_fma_f64 v[92:93], v[12:13], s[12:13], -v[22:23]
	v_fma_f64 v[12:13], v[12:13], s[12:13], v[22:23]
	v_add_f64 v[22:23], v[74:75], v[78:79]
	v_add_f64 v[88:89], v[92:93], v[88:89]
	v_fma_f64 v[92:93], v[14:15], s[12:13], v[20:21]
	v_fma_f64 v[14:15], v[14:15], s[12:13], -v[20:21]
	v_add_f64 v[20:21], v[72:73], v[76:77]
	s_delay_alu instid0(VALU_DEP_3) | instskip(SKIP_2) | instid1(VALU_DEP_4)
	v_add_f64 v[90:91], v[92:93], v[90:91]
	v_fma_f64 v[92:93], v[8:9], s[8:9], -v[18:19]
	v_fma_f64 v[8:9], v[8:9], s[8:9], v[18:19]
	v_add_f64 v[12:13], v[12:13], v[20:21]
	v_add_f64 v[14:15], v[14:15], v[22:23]
	s_delay_alu instid0(VALU_DEP_4) | instskip(SKIP_3) | instid1(VALU_DEP_3)
	v_add_f64 v[88:89], v[92:93], v[88:89]
	v_fma_f64 v[92:93], v[10:11], s[8:9], v[16:17]
	v_fma_f64 v[10:11], v[10:11], s[8:9], -v[16:17]
	v_add_f64 v[8:9], v[8:9], v[12:13]
	v_add_f64 v[90:91], v[92:93], v[90:91]
	v_mul_f64 v[92:93], v[6:7], s[14:15]
	v_fma_f64 v[6:7], v[2:3], s[2:3], v[94:95]
	v_fma_f64 v[2:3], v[2:3], s[2:3], -v[94:95]
	v_add_f64 v[10:11], v[10:11], v[14:15]
	s_delay_alu instid0(VALU_DEP_4) | instskip(SKIP_2) | instid1(VALU_DEP_4)
	v_fma_f64 v[4:5], v[0:1], s[2:3], -v[92:93]
	v_fma_f64 v[0:1], v[0:1], s[2:3], v[92:93]
	v_add_f64 v[6:7], v[6:7], v[90:91]
	v_add_f64 v[102:103], v[2:3], v[10:11]
	s_load_b64 s[2:3], s[0:1], 0x38
	s_delay_alu instid0(VALU_DEP_4) | instskip(NEXT) | instid1(VALU_DEP_4)
	v_add_f64 v[4:5], v[4:5], v[88:89]
	v_add_f64 v[100:101], v[0:1], v[8:9]
	v_mul_lo_u16 v0, v24, 13
	s_delay_alu instid0(VALU_DEP_1) | instskip(NEXT) | instid1(VALU_DEP_1)
	v_and_b32_e32 v0, 0xffff, v0
	v_lshlrev_b32_e32 v253, 4, v0
	ds_store_b128 v253, v[32:35] offset:32
	ds_store_b128 v253, v[36:39] offset:48
	;; [unrolled: 1-line block ×11, first 2 shown]
	ds_store_b128 v253, v[28:31]
	ds_store_b128 v253, v[100:103] offset:192
	s_waitcnt lgkmcnt(0)
	s_barrier
	buffer_gl0_inv
	ds_load_b128 v[112:115], v252
	ds_load_b128 v[104:107], v252 offset:2496
	ds_load_b128 v[132:135], v252 offset:16224
	;; [unrolled: 1-line block ×11, first 2 shown]
	s_and_saveexec_b32 s0, vcc_lo
	s_cbranch_execz .LBB0_3
; %bb.2:
	ds_load_b128 v[100:103], v252 offset:7488
	ds_load_b128 v[152:155], v252 offset:15600
	;; [unrolled: 1-line block ×4, first 2 shown]
.LBB0_3:
	s_or_b32 exec_lo, exec_lo, s0
	v_add_co_u32 v0, null, 0x9c, v200
	v_and_b32_e32 v3, 0xff, v200
	v_add_co_u32 v1, null, 0x138, v200
	v_add_nc_u16 v2, v200, 0x1d4
	s_delay_alu instid0(VALU_DEP_4) | instskip(NEXT) | instid1(VALU_DEP_4)
	v_and_b32_e32 v4, 0xffff, v0
	v_mul_lo_u16 v3, 0x4f, v3
	s_delay_alu instid0(VALU_DEP_4) | instskip(NEXT) | instid1(VALU_DEP_4)
	v_and_b32_e32 v6, 0xffff, v1
	v_and_b32_e32 v7, 0xffff, v2
	s_delay_alu instid0(VALU_DEP_4) | instskip(NEXT) | instid1(VALU_DEP_4)
	v_mul_u32_u24_e32 v5, 0x4ec5, v4
	v_lshrrev_b16 v68, 10, v3
	s_delay_alu instid0(VALU_DEP_4) | instskip(NEXT) | instid1(VALU_DEP_4)
	v_mul_u32_u24_e32 v4, 0x4ec5, v6
	v_mul_u32_u24_e32 v3, 0x4ec5, v7
	s_delay_alu instid0(VALU_DEP_4) | instskip(NEXT) | instid1(VALU_DEP_4)
	v_lshrrev_b32_e32 v69, 18, v5
	v_mul_lo_u16 v6, v68, 13
	s_delay_alu instid0(VALU_DEP_4) | instskip(NEXT) | instid1(VALU_DEP_4)
	v_lshrrev_b32_e32 v70, 18, v4
	v_lshrrev_b32_e32 v9, 18, v3
	s_delay_alu instid0(VALU_DEP_4) | instskip(NEXT) | instid1(VALU_DEP_4)
	v_mul_lo_u16 v7, v69, 13
	v_sub_nc_u16 v6, v200, v6
	s_delay_alu instid0(VALU_DEP_4)
	v_mul_lo_u16 v8, v70, 13
	scratch_store_b32 off, v9, off offset:456 ; 4-byte Folded Spill
	v_mul_lo_u16 v9, v9, 13
	v_sub_nc_u16 v72, v0, v7
	v_and_b32_e32 v71, 0xff, v6
	v_sub_nc_u16 v73, v1, v8
	s_delay_alu instid0(VALU_DEP_4) | instskip(NEXT) | instid1(VALU_DEP_4)
	v_sub_nc_u16 v10, v2, v9
	v_mul_lo_u16 v8, v72, 48
	s_delay_alu instid0(VALU_DEP_4) | instskip(NEXT) | instid1(VALU_DEP_4)
	v_mad_u64_u32 v[6:7], null, v71, 48, s[10:11]
	v_mul_lo_u16 v9, v73, 48
	s_delay_alu instid0(VALU_DEP_4) | instskip(NEXT) | instid1(VALU_DEP_4)
	v_mul_lo_u16 v12, v10, 48
	v_and_b32_e32 v8, 0xffff, v8
	scratch_store_b32 off, v10, off offset:220 ; 4-byte Folded Spill
	s_clause 0x1
	global_load_b128 v[84:87], v[6:7], off offset:16
	global_load_b128 v[96:99], v[6:7], off
	v_and_b32_e32 v10, 0xffff, v9
	global_load_b128 v[92:95], v[6:7], off offset:32
	v_and_b32_e32 v6, 0xffff, v12
	v_add_co_u32 v8, s0, s10, v8
	s_delay_alu instid0(VALU_DEP_1) | instskip(SKIP_1) | instid1(VALU_DEP_1)
	v_add_co_ci_u32_e64 v9, null, s11, 0, s0
	v_add_co_u32 v10, s0, s10, v10
	v_add_co_ci_u32_e64 v11, null, s11, 0, s0
	v_add_co_u32 v6, s0, s10, v6
	s_delay_alu instid0(VALU_DEP_1)
	v_add_co_ci_u32_e64 v7, null, s11, 0, s0
	s_clause 0x8
	global_load_b128 v[88:91], v[8:9], off
	global_load_b128 v[78:81], v[8:9], off offset:32
	global_load_b128 v[172:175], v[8:9], off offset:16
	global_load_b128 v[74:77], v[10:11], off
	global_load_b128 v[60:63], v[10:11], off offset:16
	global_load_b128 v[56:59], v[10:11], off offset:32
	;; [unrolled: 3-line block ×3, first 2 shown]
	s_waitcnt vmcnt(11) lgkmcnt(9)
	v_mul_f64 v[10:11], v[134:135], v[86:87]
	s_waitcnt vmcnt(10) lgkmcnt(7)
	v_mul_f64 v[6:7], v[146:147], v[98:99]
	v_mul_f64 v[8:9], v[144:145], v[98:99]
	;; [unrolled: 1-line block ×3, first 2 shown]
	s_waitcnt vmcnt(9) lgkmcnt(3)
	v_mul_f64 v[14:15], v[150:151], v[94:95]
	v_mul_f64 v[16:17], v[148:149], v[94:95]
	s_waitcnt vmcnt(4) lgkmcnt(2)
	v_mul_f64 v[36:37], v[126:127], v[62:63]
	v_mul_f64 v[38:39], v[124:125], v[62:63]
	s_waitcnt vmcnt(2)
	v_mul_f64 v[44:45], v[154:155], v[170:171]
	v_mul_f64 v[46:47], v[152:153], v[170:171]
	s_waitcnt vmcnt(1) lgkmcnt(1)
	v_mul_f64 v[48:49], v[158:159], v[166:167]
	v_mul_f64 v[50:51], v[156:157], v[166:167]
	s_waitcnt vmcnt(0) lgkmcnt(0)
	v_mul_f64 v[52:53], v[162:163], v[66:67]
	v_mul_f64 v[54:55], v[160:161], v[66:67]
	;; [unrolled: 1-line block ×12, first 2 shown]
	s_clause 0x5
	scratch_store_b128 off, v[74:77], off offset:276
	scratch_store_b128 off, v[64:67], off offset:260
	;; [unrolled: 1-line block ×6, first 2 shown]
	v_fma_f64 v[10:11], v[132:133], v[84:85], -v[10:11]
	v_fma_f64 v[6:7], v[144:145], v[96:97], -v[6:7]
	v_fma_f64 v[8:9], v[146:147], v[96:97], v[8:9]
	v_fma_f64 v[12:13], v[134:135], v[84:85], v[12:13]
	v_fma_f64 v[14:15], v[148:149], v[92:93], -v[14:15]
	v_fma_f64 v[16:17], v[150:151], v[92:93], v[16:17]
	s_clause 0x1
	scratch_store_b128 off, v[172:175], off offset:344
	scratch_store_b128 off, v[168:171], off offset:324
	s_waitcnt_vscnt null, 0x0
	s_barrier
	buffer_gl0_inv
	v_fma_f64 v[36:37], v[124:125], v[60:61], -v[36:37]
	v_fma_f64 v[38:39], v[126:127], v[60:61], v[38:39]
	v_fma_f64 v[44:45], v[152:153], v[168:169], -v[44:45]
	v_fma_f64 v[46:47], v[154:155], v[168:169], v[46:47]
	;; [unrolled: 2-line block ×9, first 2 shown]
	v_add_f64 v[56:57], v[112:113], -v[10:11]
	v_add_f64 v[58:59], v[114:115], -v[12:13]
	;; [unrolled: 1-line block ×16, first 2 shown]
	v_fma_f64 v[40:41], v[112:113], 2.0, -v[56:57]
	v_fma_f64 v[42:43], v[114:115], 2.0, -v[58:59]
	;; [unrolled: 1-line block ×4, first 2 shown]
	v_add_f64 v[6:7], v[56:57], -v[12:13]
	v_add_f64 v[8:9], v[58:59], v[10:11]
	v_fma_f64 v[100:101], v[100:101], 2.0, -v[116:117]
	v_fma_f64 v[102:103], v[102:103], 2.0, -v[118:119]
	;; [unrolled: 1-line block ×10, first 2 shown]
	v_add_f64 v[132:133], v[116:117], -v[38:39]
	v_add_f64 v[134:135], v[118:119], v[36:37]
	v_fma_f64 v[52:53], v[18:19], 2.0, -v[14:15]
	v_fma_f64 v[54:55], v[20:21], 2.0, -v[16:17]
	v_add_f64 v[10:11], v[60:61], -v[16:17]
	v_add_f64 v[12:13], v[62:63], v[14:15]
	v_add_f64 v[18:19], v[64:65], -v[24:25]
	v_add_f64 v[20:21], v[66:67], v[22:23]
	v_add_f64 v[14:15], v[40:41], -v[28:29]
	v_add_f64 v[16:17], v[42:43], -v[30:31]
	;; [unrolled: 1-line block ×6, first 2 shown]
	v_fma_f64 v[32:33], v[56:57], 2.0, -v[6:7]
	v_fma_f64 v[34:35], v[58:59], 2.0, -v[8:9]
	v_add_f64 v[22:23], v[48:49], -v[52:53]
	v_add_f64 v[24:25], v[50:51], -v[54:55]
	v_fma_f64 v[36:37], v[60:61], 2.0, -v[10:11]
	v_fma_f64 v[38:39], v[62:63], 2.0, -v[12:13]
	v_fma_f64 v[168:169], v[116:117], 2.0, -v[132:133]
	v_fma_f64 v[170:171], v[118:119], 2.0, -v[134:135]
	v_fma_f64 v[44:45], v[64:65], 2.0, -v[18:19]
	v_fma_f64 v[46:47], v[66:67], 2.0, -v[20:21]
	v_and_b32_e32 v56, 0xffff, v68
	v_mad_u16 v57, v69, 52, v72
	v_mad_u16 v58, v70, 52, v73
	v_fma_f64 v[40:41], v[40:41], 2.0, -v[14:15]
	v_fma_f64 v[42:43], v[42:43], 2.0, -v[16:17]
	v_mul_u32_u24_e32 v56, 52, v56
	v_and_b32_e32 v57, 0xffff, v57
	v_and_b32_e32 v58, 0xffff, v58
	s_delay_alu instid0(VALU_DEP_3) | instskip(NEXT) | instid1(VALU_DEP_3)
	v_add_lshl_u32 v59, v56, v71, 4
	v_lshlrev_b32_e32 v57, 4, v57
	s_delay_alu instid0(VALU_DEP_3)
	v_lshlrev_b32_e32 v56, 4, v58
	ds_store_b128 v59, v[14:17] offset:416
	ds_store_b128 v59, v[6:9] offset:624
	ds_store_b128 v59, v[40:43]
	v_fma_f64 v[116:117], v[100:101], 2.0, -v[164:165]
	v_fma_f64 v[118:119], v[102:103], 2.0, -v[166:167]
	;; [unrolled: 1-line block ×6, first 2 shown]
	scratch_store_b32 off, v59, off offset:360 ; 4-byte Folded Spill
	ds_store_b128 v59, v[32:35] offset:208
	ds_store_b128 v57, v[22:25] offset:416
	;; [unrolled: 1-line block ×3, first 2 shown]
	ds_store_b128 v57, v[48:51]
	scratch_store_b32 off, v57, off offset:340 ; 4-byte Folded Spill
	ds_store_b128 v57, v[36:39] offset:208
	ds_store_b128 v56, v[52:55]
	ds_store_b128 v56, v[44:47] offset:208
	ds_store_b128 v56, v[28:31] offset:416
	scratch_store_b32 off, v56, off offset:224 ; 4-byte Folded Spill
	ds_store_b128 v56, v[18:21] offset:624
	s_and_saveexec_b32 s0, vcc_lo
	s_cbranch_execz .LBB0_5
; %bb.4:
	scratch_load_b32 v7, off, off offset:220 ; 4-byte Folded Reload
	v_lshrrev_b32_e32 v6, 18, v3
	s_waitcnt vmcnt(0)
	s_delay_alu instid0(VALU_DEP_1) | instskip(NEXT) | instid1(VALU_DEP_1)
	v_mad_u16 v6, v6, 52, v7
	v_and_b32_e32 v6, 0xffff, v6
	s_delay_alu instid0(VALU_DEP_1)
	v_lshlrev_b32_e32 v6, 4, v6
	ds_store_b128 v6, v[116:119]
	ds_store_b128 v6, v[168:171] offset:208
	ds_store_b128 v6, v[164:167] offset:416
	;; [unrolled: 1-line block ×3, first 2 shown]
.LBB0_5:
	s_or_b32 exec_lo, exec_lo, s0
	s_waitcnt lgkmcnt(0)
	s_waitcnt_vscnt null, 0x0
	s_barrier
	buffer_gl0_inv
	ds_load_b128 v[120:123], v252
	ds_load_b128 v[160:163], v252 offset:2496
	ds_load_b128 v[104:107], v252 offset:10816
	;; [unrolled: 1-line block ×11, first 2 shown]
	v_cmp_gt_u16_e64 s0, 52, v200
	s_delay_alu instid0(VALU_DEP_1)
	s_and_saveexec_b32 s1, s0
	s_cbranch_execz .LBB0_7
; %bb.6:
	ds_load_b128 v[116:119], v252 offset:9984
	ds_load_b128 v[168:171], v252 offset:20800
	;; [unrolled: 1-line block ×3, first 2 shown]
.LBB0_7:
	s_or_b32 exec_lo, exec_lo, s1
	v_lshrrev_b32_e32 v8, 20, v5
	v_lshrrev_b32_e32 v66, 20, v4
	;; [unrolled: 1-line block ×3, first 2 shown]
	s_mov_b32 s8, 0xe8584caa
	s_mov_b32 s9, 0x3febb67a
	v_mul_lo_u16 v5, v8, 52
	s_mov_b32 s13, 0xbfebb67a
	s_mov_b32 s12, s8
	s_delay_alu instid0(VALU_DEP_1) | instskip(NEXT) | instid1(VALU_DEP_1)
	v_sub_nc_u16 v25, v0, v5
	v_lshlrev_b16 v0, 5, v25
	v_mad_u16 v8, 0x9c, v8, v25
	s_delay_alu instid0(VALU_DEP_2) | instskip(NEXT) | instid1(VALU_DEP_2)
	v_and_b32_e32 v0, 0xffff, v0
	v_and_b32_e32 v8, 0xffff, v8
	s_delay_alu instid0(VALU_DEP_2) | instskip(NEXT) | instid1(VALU_DEP_1)
	v_add_co_u32 v5, s1, s10, v0
	v_add_co_ci_u32_e64 v6, null, s11, 0, s1
	v_mul_lo_u16 v0, v66, 52
	s_delay_alu instid0(VALU_DEP_4) | instskip(SKIP_4) | instid1(VALU_DEP_1)
	v_lshlrev_b32_e32 v8, 4, v8
	s_clause 0x1
	global_load_b128 v[108:111], v[5:6], off offset:624
	global_load_b128 v[112:115], v[5:6], off offset:640
	v_sub_nc_u16 v67, v1, v0
	v_lshlrev_b16 v0, 5, v67
	s_delay_alu instid0(VALU_DEP_1) | instskip(NEXT) | instid1(VALU_DEP_1)
	v_and_b32_e32 v0, 0xffff, v0
	v_add_co_u32 v0, s1, s10, v0
	s_delay_alu instid0(VALU_DEP_1) | instskip(SKIP_2) | instid1(VALU_DEP_1)
	v_add_co_ci_u32_e64 v1, null, s11, 0, s1
	s_waitcnt vmcnt(1) lgkmcnt(8)
	v_mul_f64 v[5:6], v[130:131], v[110:111]
	v_fma_f64 v[13:14], v[128:129], v[108:109], -v[5:6]
	v_mul_f64 v[5:6], v[128:129], v[110:111]
	s_delay_alu instid0(VALU_DEP_2) | instskip(NEXT) | instid1(VALU_DEP_2)
	v_add_f64 v[34:35], v[160:161], v[13:14]
	v_fma_f64 v[9:10], v[130:131], v[108:109], v[5:6]
	s_waitcnt vmcnt(0) lgkmcnt(6)
	v_mul_f64 v[5:6], v[126:127], v[114:115]
	s_delay_alu instid0(VALU_DEP_2) | instskip(NEXT) | instid1(VALU_DEP_2)
	v_add_f64 v[32:33], v[162:163], v[9:10]
	v_fma_f64 v[15:16], v[124:125], v[112:113], -v[5:6]
	v_mul_f64 v[5:6], v[124:125], v[114:115]
	s_delay_alu instid0(VALU_DEP_1)
	v_fma_f64 v[11:12], v[126:127], v[112:113], v[5:6]
	s_clause 0x1
	global_load_b128 v[124:127], v[0:1], off offset:624
	global_load_b128 v[128:131], v[0:1], off offset:640
	v_add_f64 v[44:45], v[9:10], -v[11:12]
	s_waitcnt vmcnt(1) lgkmcnt(3)
	v_mul_f64 v[0:1], v[142:143], v[126:127]
	s_delay_alu instid0(VALU_DEP_1) | instskip(SKIP_1) | instid1(VALU_DEP_2)
	v_fma_f64 v[28:29], v[140:141], v[124:125], -v[0:1]
	v_mul_f64 v[0:1], v[140:141], v[126:127]
	v_add_f64 v[46:47], v[156:157], v[28:29]
	s_delay_alu instid0(VALU_DEP_2) | instskip(SKIP_2) | instid1(VALU_DEP_1)
	v_fma_f64 v[21:22], v[142:143], v[124:125], v[0:1]
	s_waitcnt vmcnt(0) lgkmcnt(1)
	v_mul_f64 v[0:1], v[138:139], v[130:131]
	v_fma_f64 v[30:31], v[136:137], v[128:129], -v[0:1]
	v_mul_f64 v[0:1], v[136:137], v[130:131]
	s_delay_alu instid0(VALU_DEP_1) | instskip(SKIP_1) | instid1(VALU_DEP_1)
	v_fma_f64 v[23:24], v[138:139], v[128:129], v[0:1]
	v_mul_lo_u16 v0, v68, 52
	v_sub_nc_u16 v69, v2, v0
	s_delay_alu instid0(VALU_DEP_1) | instskip(NEXT) | instid1(VALU_DEP_1)
	v_lshlrev_b16 v0, 5, v69
	v_and_b32_e32 v0, 0xffff, v0
	s_delay_alu instid0(VALU_DEP_1) | instskip(NEXT) | instid1(VALU_DEP_1)
	v_add_co_u32 v0, s1, s10, v0
	v_add_co_ci_u32_e64 v1, null, s11, 0, s1
	s_clause 0x1
	global_load_b128 v[136:139], v[0:1], off offset:624
	global_load_b128 v[140:143], v[0:1], off offset:640
	v_add_f64 v[56:57], v[21:22], -v[23:24]
	s_waitcnt vmcnt(1)
	v_mul_f64 v[0:1], v[150:151], v[138:139]
	s_delay_alu instid0(VALU_DEP_1) | instskip(SKIP_1) | instid1(VALU_DEP_2)
	v_fma_f64 v[40:41], v[148:149], v[136:137], -v[0:1]
	v_mul_f64 v[0:1], v[148:149], v[138:139]
	v_add_f64 v[58:59], v[152:153], v[40:41]
	s_delay_alu instid0(VALU_DEP_2) | instskip(SKIP_2) | instid1(VALU_DEP_1)
	v_fma_f64 v[36:37], v[150:151], v[136:137], v[0:1]
	s_waitcnt vmcnt(0) lgkmcnt(0)
	v_mul_f64 v[0:1], v[146:147], v[142:143]
	v_fma_f64 v[42:43], v[144:145], v[140:141], -v[0:1]
	v_mul_f64 v[0:1], v[144:145], v[142:143]
	s_delay_alu instid0(VALU_DEP_1) | instskip(SKIP_1) | instid1(VALU_DEP_1)
	v_fma_f64 v[38:39], v[146:147], v[140:141], v[0:1]
	v_and_b32_e32 v0, 0xff, v200
	v_mul_lo_u16 v0, 0x4f, v0
	s_delay_alu instid0(VALU_DEP_1) | instskip(NEXT) | instid1(VALU_DEP_1)
	v_lshrrev_b16 v70, 12, v0
	v_mul_lo_u16 v0, v70, 52
	s_delay_alu instid0(VALU_DEP_1) | instskip(NEXT) | instid1(VALU_DEP_1)
	v_sub_nc_u16 v0, v200, v0
	v_and_b32_e32 v71, 0xff, v0
	s_delay_alu instid0(VALU_DEP_1)
	v_lshlrev_b32_e32 v0, 5, v71
	s_clause 0x1
	global_load_b128 v[144:147], v0, s[10:11] offset:624
	global_load_b128 v[148:151], v0, s[10:11] offset:640
	v_add_f64 v[60:61], v[36:37], -v[38:39]
	s_waitcnt vmcnt(1)
	v_mul_f64 v[0:1], v[106:107], v[146:147]
	s_delay_alu instid0(VALU_DEP_1) | instskip(SKIP_1) | instid1(VALU_DEP_2)
	v_fma_f64 v[52:53], v[104:105], v[144:145], -v[0:1]
	v_mul_f64 v[0:1], v[104:105], v[146:147]
	v_add_f64 v[62:63], v[120:121], v[52:53]
	s_delay_alu instid0(VALU_DEP_2) | instskip(SKIP_2) | instid1(VALU_DEP_1)
	v_fma_f64 v[48:49], v[106:107], v[144:145], v[0:1]
	s_waitcnt vmcnt(0)
	v_mul_f64 v[0:1], v[102:103], v[150:151]
	v_fma_f64 v[54:55], v[100:101], v[148:149], -v[0:1]
	v_mul_f64 v[0:1], v[100:101], v[150:151]
	s_delay_alu instid0(VALU_DEP_1) | instskip(SKIP_1) | instid1(VALU_DEP_1)
	v_fma_f64 v[50:51], v[102:103], v[148:149], v[0:1]
	v_add_nc_u32_e32 v0, 0x270, v200
	v_and_b32_e32 v1, 0xffff, v0
	s_delay_alu instid0(VALU_DEP_1) | instskip(NEXT) | instid1(VALU_DEP_1)
	v_mul_u32_u24_e32 v1, 0x4ec5, v1
	v_lshrrev_b32_e32 v1, 20, v1
	s_delay_alu instid0(VALU_DEP_1) | instskip(NEXT) | instid1(VALU_DEP_1)
	v_mul_lo_u16 v1, v1, 52
	v_sub_nc_u16 v72, v0, v1
	s_delay_alu instid0(VALU_DEP_1) | instskip(NEXT) | instid1(VALU_DEP_1)
	v_lshlrev_b16 v0, 5, v72
	v_and_b32_e32 v0, 0xffff, v0
	v_add_f64 v[64:65], v[48:49], -v[50:51]
	s_delay_alu instid0(VALU_DEP_2) | instskip(NEXT) | instid1(VALU_DEP_1)
	v_add_co_u32 v0, s1, s10, v0
	v_add_co_ci_u32_e64 v1, null, s11, 0, s1
	s_clause 0x1
	global_load_b128 v[4:7], v[0:1], off offset:624
	global_load_b128 v[17:20], v[0:1], off offset:640
	s_waitcnt vmcnt(1)
	v_mul_f64 v[0:1], v[170:171], v[6:7]
	v_mul_f64 v[2:3], v[168:169], v[6:7]
	scratch_store_b128 off, v[4:7], off offset:460 ; 16-byte Folded Spill
	s_waitcnt vmcnt(0)
	scratch_store_b128 off, v[17:20], off offset:476 ; 16-byte Folded Spill
	s_waitcnt_vscnt null, 0x0
	s_barrier
	buffer_gl0_inv
	v_fma_f64 v[0:1], v[168:169], v[4:5], -v[0:1]
	v_fma_f64 v[6:7], v[170:171], v[4:5], v[2:3]
	v_mul_f64 v[2:3], v[166:167], v[19:20]
	v_mul_f64 v[4:5], v[164:165], v[19:20]
	v_add_f64 v[19:20], v[9:10], v[11:12]
	v_add_f64 v[11:12], v[32:33], v[11:12]
	v_add_f64 v[32:33], v[13:14], -v[15:16]
	v_add_f64 v[9:10], v[34:35], v[15:16]
	v_add_f64 v[34:35], v[21:22], v[23:24]
	v_fma_f64 v[2:3], v[164:165], v[17:18], -v[2:3]
	v_fma_f64 v[4:5], v[166:167], v[17:18], v[4:5]
	v_add_f64 v[17:18], v[13:14], v[15:16]
	v_fma_f64 v[19:20], v[19:20], -0.5, v[162:163]
	v_fma_f64 v[34:35], v[34:35], -0.5, v[158:159]
	s_delay_alu instid0(VALU_DEP_3) | instskip(NEXT) | instid1(VALU_DEP_3)
	v_fma_f64 v[17:18], v[17:18], -0.5, v[160:161]
	v_fma_f64 v[15:16], v[32:33], s[12:13], v[19:20]
	v_fma_f64 v[19:20], v[32:33], s[8:9], v[19:20]
	v_add_f64 v[32:33], v[28:29], v[30:31]
	s_delay_alu instid0(VALU_DEP_4) | instskip(SKIP_2) | instid1(VALU_DEP_4)
	v_fma_f64 v[13:14], v[44:45], s[8:9], v[17:18]
	v_fma_f64 v[17:18], v[44:45], s[12:13], v[17:18]
	v_add_f64 v[44:45], v[158:159], v[21:22]
	v_fma_f64 v[32:33], v[32:33], -0.5, v[156:157]
	v_add_f64 v[21:22], v[46:47], v[30:31]
	v_add_f64 v[46:47], v[36:37], v[38:39]
	s_delay_alu instid0(VALU_DEP_4)
	v_add_f64 v[23:24], v[44:45], v[23:24]
	v_add_f64 v[44:45], v[28:29], -v[30:31]
	v_fma_f64 v[28:29], v[56:57], s[8:9], v[32:33]
	v_fma_f64 v[32:33], v[56:57], s[12:13], v[32:33]
	v_add_f64 v[56:57], v[154:155], v[36:37]
	v_fma_f64 v[46:47], v[46:47], -0.5, v[154:155]
	v_add_f64 v[36:37], v[58:59], v[42:43]
	v_add_f64 v[58:59], v[48:49], v[50:51]
	v_fma_f64 v[30:31], v[44:45], s[12:13], v[34:35]
	v_fma_f64 v[34:35], v[44:45], s[8:9], v[34:35]
	v_add_f64 v[44:45], v[40:41], v[42:43]
	v_add_f64 v[38:39], v[56:57], v[38:39]
	v_add_f64 v[56:57], v[40:41], -v[42:43]
	v_fma_f64 v[58:59], v[58:59], -0.5, v[122:123]
	s_delay_alu instid0(VALU_DEP_4) | instskip(NEXT) | instid1(VALU_DEP_3)
	v_fma_f64 v[44:45], v[44:45], -0.5, v[152:153]
	v_fma_f64 v[42:43], v[56:57], s[12:13], v[46:47]
	v_fma_f64 v[46:47], v[56:57], s[8:9], v[46:47]
	v_add_f64 v[56:57], v[52:53], v[54:55]
	s_delay_alu instid0(VALU_DEP_4) | instskip(SKIP_4) | instid1(VALU_DEP_3)
	v_fma_f64 v[40:41], v[60:61], s[8:9], v[44:45]
	v_fma_f64 v[44:45], v[60:61], s[12:13], v[44:45]
	v_add_f64 v[60:61], v[122:123], v[48:49]
	v_add_f64 v[48:49], v[62:63], v[54:55]
	v_fma_f64 v[56:57], v[56:57], -0.5, v[120:121]
	v_add_f64 v[50:51], v[60:61], v[50:51]
	v_add_f64 v[60:61], v[52:53], -v[54:55]
	s_delay_alu instid0(VALU_DEP_3) | instskip(SKIP_2) | instid1(VALU_DEP_4)
	v_fma_f64 v[52:53], v[64:65], s[8:9], v[56:57]
	v_fma_f64 v[100:101], v[64:65], s[12:13], v[56:57]
	v_add_f64 v[56:57], v[0:1], v[2:3]
	v_fma_f64 v[54:55], v[60:61], s[12:13], v[58:59]
	v_fma_f64 v[102:103], v[60:61], s[8:9], v[58:59]
	v_add_f64 v[58:59], v[6:7], v[4:5]
	s_delay_alu instid0(VALU_DEP_4) | instskip(SKIP_1) | instid1(VALU_DEP_3)
	v_fma_f64 v[56:57], v[56:57], -0.5, v[116:117]
	v_add_f64 v[60:61], v[6:7], -v[4:5]
	v_fma_f64 v[58:59], v[58:59], -0.5, v[118:119]
	s_delay_alu instid0(VALU_DEP_2) | instskip(SKIP_2) | instid1(VALU_DEP_1)
	v_fma_f64 v[192:193], v[60:61], s[8:9], v[56:57]
	v_fma_f64 v[196:197], v[60:61], s[12:13], v[56:57]
	v_add_f64 v[56:57], v[0:1], -v[2:3]
	v_fma_f64 v[194:195], v[56:57], s[12:13], v[58:59]
	v_fma_f64 v[198:199], v[56:57], s[8:9], v[58:59]
	v_and_b32_e32 v56, 0xffff, v70
	s_delay_alu instid0(VALU_DEP_1) | instskip(NEXT) | instid1(VALU_DEP_1)
	v_mul_u32_u24_e32 v56, 0x9c, v56
	v_add_lshl_u32 v56, v56, v71, 4
	ds_store_b128 v56, v[48:51]
	ds_store_b128 v56, v[52:55] offset:832
	scratch_store_b32 off, v56, off offset:380 ; 4-byte Folded Spill
	ds_store_b128 v56, v[100:103] offset:1664
	ds_store_b128 v8, v[9:12]
	ds_store_b128 v8, v[13:16] offset:832
	scratch_store_b32 off, v8, off offset:376 ; 4-byte Folded Spill
	ds_store_b128 v8, v[17:20] offset:1664
	v_mad_u16 v8, 0x9c, v66, v67
	s_delay_alu instid0(VALU_DEP_1) | instskip(NEXT) | instid1(VALU_DEP_1)
	v_and_b32_e32 v8, 0xffff, v8
	v_lshlrev_b32_e32 v8, 4, v8
	ds_store_b128 v8, v[21:24]
	ds_store_b128 v8, v[28:31] offset:832
	scratch_store_b32 off, v8, off offset:368 ; 4-byte Folded Spill
	ds_store_b128 v8, v[32:35] offset:1664
	v_mad_u16 v8, 0x9c, v68, v69
	s_delay_alu instid0(VALU_DEP_1) | instskip(NEXT) | instid1(VALU_DEP_1)
	v_and_b32_e32 v8, 0xffff, v8
	v_lshlrev_b32_e32 v8, 4, v8
	ds_store_b128 v8, v[36:39]
	ds_store_b128 v8, v[40:43] offset:832
	scratch_store_b32 off, v8, off offset:372 ; 4-byte Folded Spill
	ds_store_b128 v8, v[44:47] offset:1664
	v_and_b32_e32 v8, 0xffff, v72
	scratch_store_b32 off, v8, off offset:364 ; 4-byte Folded Spill
	s_and_saveexec_b32 s1, s0
	s_cbranch_execz .LBB0_9
; %bb.8:
	v_add_f64 v[0:1], v[116:117], v[0:1]
	v_add_f64 v[6:7], v[118:119], v[6:7]
	s_delay_alu instid0(VALU_DEP_2)
	v_add_f64 v[2:3], v[0:1], v[2:3]
	scratch_load_b32 v0, off, off offset:364 ; 4-byte Folded Reload
	v_add_f64 v[4:5], v[6:7], v[4:5]
	s_waitcnt vmcnt(0)
	v_lshlrev_b32_e32 v0, 4, v0
	ds_store_b128 v0, v[2:5] offset:29952
	ds_store_b128 v0, v[192:195] offset:30784
	ds_store_b128 v0, v[196:199] offset:31616
.LBB0_9:
	s_or_b32 exec_lo, exec_lo, s1
	v_mad_u64_u32 v[0:1], null, 0xc0, v200, s[10:11]
	scratch_store_b32 off, v200, off offset:216 ; 4-byte Folded Spill
	s_waitcnt lgkmcnt(0)
	s_waitcnt_vscnt null, 0x0
	s_barrier
	buffer_gl0_inv
	s_mov_b32 s30, 0x4267c47c
	s_mov_b32 s14, 0x2ef20147
	s_clause 0x2
	global_load_b128 v[152:155], v[0:1], off offset:2288
	global_load_b128 v[116:119], v[0:1], off offset:2304
	;; [unrolled: 1-line block ×3, first 2 shown]
	ds_load_b128 v[156:159], v252 offset:2496
	ds_load_b128 v[2:5], v252
	ds_load_b128 v[6:9], v252 offset:4992
	ds_load_b128 v[10:13], v252 offset:7488
	global_load_b128 v[172:175], v[0:1], off offset:2336
	s_mov_b32 s10, 0x24c2f84
	s_mov_b32 s31, 0xbfddbe06
	;; [unrolled: 1-line block ×31, first 2 shown]
	s_waitcnt vmcnt(3) lgkmcnt(3)
	v_mul_f64 v[14:15], v[158:159], v[154:155]
	s_waitcnt vmcnt(2) lgkmcnt(1)
	v_mul_f64 v[18:19], v[8:9], v[118:119]
	v_mul_f64 v[20:21], v[6:7], v[118:119]
	v_mul_f64 v[16:17], v[156:157], v[154:155]
	s_delay_alu instid0(VALU_DEP_4) | instskip(NEXT) | instid1(VALU_DEP_4)
	v_fma_f64 v[14:15], v[156:157], v[152:153], -v[14:15]
	v_fma_f64 v[58:59], v[6:7], v[116:117], -v[18:19]
	s_waitcnt vmcnt(1) lgkmcnt(0)
	v_mul_f64 v[6:7], v[12:13], v[122:123]
	s_delay_alu instid0(VALU_DEP_4) | instskip(SKIP_2) | instid1(VALU_DEP_4)
	v_fma_f64 v[16:17], v[158:159], v[152:153], v[16:17]
	v_fma_f64 v[208:209], v[8:9], v[116:117], v[20:21]
	v_add_f64 v[82:83], v[2:3], v[14:15]
	v_fma_f64 v[210:211], v[10:11], v[120:121], -v[6:7]
	v_mul_f64 v[6:7], v[10:11], v[122:123]
	s_delay_alu instid0(VALU_DEP_1)
	v_fma_f64 v[212:213], v[12:13], v[120:121], v[6:7]
	ds_load_b128 v[6:9], v252 offset:9984
	ds_load_b128 v[10:13], v252 offset:12480
	s_clause 0x1
	global_load_b128 v[160:163], v[0:1], off offset:2352
	global_load_b128 v[156:159], v[0:1], off offset:2368
	s_waitcnt vmcnt(2) lgkmcnt(1)
	v_mul_f64 v[18:19], v[8:9], v[174:175]
	s_delay_alu instid0(VALU_DEP_1) | instskip(SKIP_1) | instid1(VALU_DEP_1)
	v_fma_f64 v[214:215], v[6:7], v[172:173], -v[18:19]
	v_mul_f64 v[6:7], v[6:7], v[174:175]
	v_fma_f64 v[216:217], v[8:9], v[172:173], v[6:7]
	s_waitcnt vmcnt(1) lgkmcnt(0)
	v_mul_f64 v[6:7], v[12:13], v[162:163]
	s_delay_alu instid0(VALU_DEP_1) | instskip(SKIP_1) | instid1(VALU_DEP_1)
	v_fma_f64 v[218:219], v[10:11], v[160:161], -v[6:7]
	v_mul_f64 v[6:7], v[10:11], v[162:163]
	v_fma_f64 v[220:221], v[12:13], v[160:161], v[6:7]
	ds_load_b128 v[6:9], v252 offset:14976
	ds_load_b128 v[10:13], v252 offset:17472
	s_clause 0x1
	global_load_b128 v[168:171], v[0:1], off offset:2384
	global_load_b128 v[164:167], v[0:1], off offset:2400
	s_waitcnt vmcnt(2) lgkmcnt(1)
	v_mul_f64 v[18:19], v[8:9], v[158:159]
	s_delay_alu instid0(VALU_DEP_1) | instskip(SKIP_1) | instid1(VALU_DEP_1)
	v_fma_f64 v[222:223], v[6:7], v[156:157], -v[18:19]
	v_mul_f64 v[6:7], v[6:7], v[158:159]
	v_fma_f64 v[224:225], v[8:9], v[156:157], v[6:7]
	s_waitcnt vmcnt(1) lgkmcnt(0)
	v_mul_f64 v[6:7], v[12:13], v[170:171]
	s_delay_alu instid0(VALU_DEP_1) | instskip(SKIP_1) | instid1(VALU_DEP_2)
	v_fma_f64 v[226:227], v[10:11], v[168:169], -v[6:7]
	v_mul_f64 v[6:7], v[10:11], v[170:171]
	v_add_f64 v[68:69], v[222:223], v[226:227]
	s_delay_alu instid0(VALU_DEP_2)
	v_fma_f64 v[228:229], v[12:13], v[168:169], v[6:7]
	ds_load_b128 v[6:9], v252 offset:19968
	ds_load_b128 v[10:13], v252 offset:22464
	s_clause 0x1
	global_load_b128 v[176:179], v[0:1], off offset:2416
	global_load_b128 v[180:183], v[0:1], off offset:2432
	s_waitcnt vmcnt(2) lgkmcnt(1)
	v_mul_f64 v[18:19], v[8:9], v[166:167]
	v_add_f64 v[72:73], v[224:225], v[228:229]
	s_delay_alu instid0(VALU_DEP_2) | instskip(SKIP_1) | instid1(VALU_DEP_1)
	v_fma_f64 v[230:231], v[6:7], v[164:165], -v[18:19]
	v_mul_f64 v[6:7], v[6:7], v[166:167]
	v_fma_f64 v[232:233], v[8:9], v[164:165], v[6:7]
	s_waitcnt vmcnt(1) lgkmcnt(0)
	v_mul_f64 v[6:7], v[12:13], v[178:179]
	s_delay_alu instid0(VALU_DEP_1) | instskip(SKIP_1) | instid1(VALU_DEP_1)
	v_fma_f64 v[234:235], v[10:11], v[176:177], -v[6:7]
	v_mul_f64 v[6:7], v[10:11], v[178:179]
	v_fma_f64 v[236:237], v[12:13], v[176:177], v[6:7]
	ds_load_b128 v[6:9], v252 offset:24960
	ds_load_b128 v[10:13], v252 offset:27456
	s_clause 0x1
	global_load_b128 v[184:187], v[0:1], off offset:2448
	global_load_b128 v[188:191], v[0:1], off offset:2464
	s_waitcnt vmcnt(2) lgkmcnt(1)
	v_mul_f64 v[18:19], v[8:9], v[182:183]
	s_delay_alu instid0(VALU_DEP_1) | instskip(SKIP_1) | instid1(VALU_DEP_1)
	v_fma_f64 v[238:239], v[6:7], v[180:181], -v[18:19]
	v_mul_f64 v[6:7], v[6:7], v[182:183]
	v_fma_f64 v[240:241], v[8:9], v[180:181], v[6:7]
	ds_load_b128 v[6:9], v252 offset:29952
	s_waitcnt vmcnt(1) lgkmcnt(1)
	v_mul_f64 v[0:1], v[12:13], v[186:187]
	s_delay_alu instid0(VALU_DEP_1) | instskip(SKIP_1) | instid1(VALU_DEP_2)
	v_fma_f64 v[242:243], v[10:11], v[184:185], -v[0:1]
	v_mul_f64 v[0:1], v[10:11], v[186:187]
	v_add_f64 v[254:255], v[58:59], v[242:243]
	s_delay_alu instid0(VALU_DEP_2) | instskip(SKIP_2) | instid1(VALU_DEP_1)
	v_fma_f64 v[244:245], v[12:13], v[184:185], v[0:1]
	s_waitcnt vmcnt(0) lgkmcnt(0)
	v_mul_f64 v[0:1], v[6:7], v[190:191]
	v_fma_f64 v[246:247], v[8:9], v[188:189], v[0:1]
	v_mul_f64 v[0:1], v[8:9], v[190:191]
	s_delay_alu instid0(VALU_DEP_2) | instskip(NEXT) | instid1(VALU_DEP_2)
	v_add_f64 v[46:47], v[16:17], v[246:247]
	v_fma_f64 v[248:249], v[6:7], v[188:189], -v[0:1]
	v_add_f64 v[0:1], v[16:17], -v[246:247]
	s_delay_alu instid0(VALU_DEP_2) | instskip(NEXT) | instid1(VALU_DEP_2)
	v_add_f64 v[20:21], v[14:15], v[248:249]
	v_mul_f64 v[6:7], v[0:1], s[30:31]
	v_mul_f64 v[12:13], v[0:1], s[14:15]
	;; [unrolled: 1-line block ×6, first 2 shown]
	v_fma_f64 v[22:23], v[20:21], s[28:29], -v[6:7]
	v_fma_f64 v[6:7], v[20:21], s[28:29], v[6:7]
	v_fma_f64 v[30:31], v[20:21], s[22:23], -v[12:13]
	v_fma_f64 v[12:13], v[20:21], s[22:23], v[12:13]
	;; [unrolled: 2-line block ×3, first 2 shown]
	v_add_f64 v[18:19], v[14:15], -v[248:249]
	v_fma_f64 v[24:25], v[20:21], s[24:25], -v[8:9]
	v_fma_f64 v[8:9], v[20:21], s[24:25], v[8:9]
	v_fma_f64 v[28:29], v[20:21], s[26:27], -v[10:11]
	v_fma_f64 v[10:11], v[20:21], s[26:27], v[10:11]
	;; [unrolled: 2-line block ×3, first 2 shown]
	v_add_f64 v[14:15], v[4:5], v[16:17]
	v_add_f64 v[250:251], v[2:3], v[6:7]
	;; [unrolled: 1-line block ×5, first 2 shown]
	v_add_f64 v[30:31], v[212:213], -v[240:241]
	v_mul_f64 v[44:45], v[18:19], s[10:11]
	v_mul_f64 v[20:21], v[18:19], s[30:31]
	;; [unrolled: 1-line block ×6, first 2 shown]
	v_add_f64 v[0:1], v[2:3], v[0:1]
	scratch_store_b64 off, v[14:15], off offset:392 ; 8-byte Folded Spill
	v_add_f64 v[14:15], v[2:3], v[22:23]
	v_add_f64 v[204:205], v[2:3], v[24:25]
	;; [unrolled: 1-line block ×3, first 2 shown]
	v_add_f64 v[32:33], v[210:211], -v[238:239]
	v_add_f64 v[28:29], v[224:225], -v[228:229]
	scratch_store_b64 off, v[6:7], off offset:448 ; 8-byte Folded Spill
	v_add_f64 v[6:7], v[2:3], v[38:39]
	v_fma_f64 v[62:63], v[46:47], s[16:17], v[44:45]
	v_fma_f64 v[44:45], v[46:47], s[16:17], -v[44:45]
	v_fma_f64 v[48:49], v[46:47], s[28:29], v[20:21]
	v_fma_f64 v[20:21], v[46:47], s[28:29], -v[20:21]
	v_fma_f64 v[50:51], v[46:47], s[24:25], v[34:35]
	v_fma_f64 v[64:65], v[46:47], s[12:13], v[18:19]
	scratch_store_b64 off, v[0:1], off offset:400 ; 8-byte Folded Spill
	v_fma_f64 v[34:35], v[46:47], s[24:25], -v[34:35]
	v_fma_f64 v[52:53], v[46:47], s[26:27], v[36:37]
	v_fma_f64 v[54:55], v[46:47], s[26:27], -v[36:37]
	v_fma_f64 v[56:57], v[46:47], s[22:23], v[42:43]
	v_fma_f64 v[60:61], v[46:47], s[22:23], -v[42:43]
	v_fma_f64 v[46:47], v[46:47], s[12:13], -v[18:19]
	v_add_f64 v[36:37], v[2:3], v[10:11]
	v_mul_f64 v[100:101], v[32:33], s[20:21]
	scratch_store_b64 off, v[6:7], off offset:440 ; 8-byte Folded Spill
	v_add_f64 v[76:77], v[4:5], v[62:63]
	v_add_f64 v[6:7], v[4:5], v[44:45]
	;; [unrolled: 1-line block ×4, first 2 shown]
	v_add_f64 v[8:9], v[58:59], -v[242:243]
	v_add_f64 v[22:23], v[4:5], v[20:21]
	v_add_f64 v[18:19], v[4:5], v[50:51]
	;; [unrolled: 1-line block ×8, first 2 shown]
	v_add_f64 v[50:51], v[216:217], -v[236:237]
	v_add_f64 v[52:53], v[220:221], -v[232:233]
	scratch_store_b64 off, v[6:7], off offset:432 ; 8-byte Folded Spill
	v_add_f64 v[6:7], v[2:3], v[40:41]
	v_mul_f64 v[12:13], v[8:9], s[18:19]
	scratch_store_b64 off, v[0:1], off offset:408 ; 8-byte Folded Spill
	v_mul_f64 v[104:105], v[50:51], s[14:15]
	v_mul_f64 v[60:61], v[52:53], s[10:11]
	scratch_store_b64 off, v[6:7], off offset:424 ; 8-byte Folded Spill
	v_add_f64 v[6:7], v[4:5], v[64:65]
	scratch_store_b64 off, v[6:7], off offset:416 ; 8-byte Folded Spill
	v_add_f64 v[6:7], v[208:209], -v[244:245]
	s_delay_alu instid0(VALU_DEP_1) | instskip(NEXT) | instid1(VALU_DEP_1)
	v_mul_f64 v[10:11], v[6:7], s[18:19]
	v_fma_f64 v[0:1], v[254:255], s[24:25], -v[10:11]
	v_fma_f64 v[10:11], v[254:255], s[24:25], v[10:11]
	s_delay_alu instid0(VALU_DEP_2) | instskip(SKIP_2) | instid1(VALU_DEP_4)
	v_add_f64 v[2:3], v[0:1], v[14:15]
	v_add_f64 v[0:1], v[208:209], v[244:245]
	;; [unrolled: 1-line block ×4, first 2 shown]
	s_delay_alu instid0(VALU_DEP_3) | instskip(SKIP_1) | instid1(VALU_DEP_2)
	v_fma_f64 v[4:5], v[0:1], s[24:25], v[12:13]
	v_fma_f64 v[12:13], v[0:1], s[24:25], -v[12:13]
	v_add_f64 v[20:21], v[4:5], v[16:17]
	v_mul_f64 v[4:5], v[30:31], s[20:21]
	s_delay_alu instid0(VALU_DEP_3) | instskip(NEXT) | instid1(VALU_DEP_2)
	v_add_f64 v[12:13], v[12:13], v[22:23]
	v_fma_f64 v[16:17], v[14:15], s[26:27], -v[4:5]
	v_fma_f64 v[4:5], v[14:15], s[26:27], v[4:5]
	s_delay_alu instid0(VALU_DEP_2) | instskip(SKIP_1) | instid1(VALU_DEP_3)
	v_add_f64 v[2:3], v[16:17], v[2:3]
	v_add_f64 v[16:17], v[212:213], v[240:241]
	;; [unrolled: 1-line block ×3, first 2 shown]
	s_delay_alu instid0(VALU_DEP_2) | instskip(SKIP_1) | instid1(VALU_DEP_2)
	v_fma_f64 v[38:39], v[16:17], s[26:27], v[100:101]
	v_fma_f64 v[10:11], v[16:17], s[26:27], -v[100:101]
	v_add_f64 v[20:21], v[38:39], v[20:21]
	v_add_f64 v[38:39], v[214:215], v[234:235]
	s_delay_alu instid0(VALU_DEP_3) | instskip(NEXT) | instid1(VALU_DEP_2)
	v_add_f64 v[10:11], v[10:11], v[12:13]
	v_fma_f64 v[40:41], v[38:39], s[22:23], -v[104:105]
	v_fma_f64 v[12:13], v[38:39], s[22:23], v[104:105]
	s_delay_alu instid0(VALU_DEP_2) | instskip(SKIP_2) | instid1(VALU_DEP_4)
	v_add_f64 v[46:47], v[40:41], v[2:3]
	v_add_f64 v[2:3], v[214:215], -v[234:235]
	v_add_f64 v[40:41], v[216:217], v[236:237]
	v_add_f64 v[4:5], v[12:13], v[4:5]
	s_delay_alu instid0(VALU_DEP_3) | instskip(SKIP_1) | instid1(VALU_DEP_2)
	v_mul_f64 v[106:107], v[2:3], s[14:15]
	v_mul_f64 v[250:251], v[2:3], s[44:45]
	v_fma_f64 v[44:45], v[40:41], s[22:23], v[106:107]
	v_fma_f64 v[12:13], v[40:41], s[22:23], -v[106:107]
	s_delay_alu instid0(VALU_DEP_2) | instskip(SKIP_1) | instid1(VALU_DEP_3)
	v_add_f64 v[56:57], v[44:45], v[20:21]
	v_add_f64 v[44:45], v[218:219], v[230:231]
	;; [unrolled: 1-line block ×3, first 2 shown]
	s_delay_alu instid0(VALU_DEP_2) | instskip(SKIP_1) | instid1(VALU_DEP_2)
	v_fma_f64 v[20:21], v[44:45], s[16:17], -v[60:61]
	v_fma_f64 v[12:13], v[44:45], s[16:17], v[60:61]
	v_add_f64 v[62:63], v[20:21], v[46:47]
	v_add_f64 v[20:21], v[218:219], -v[230:231]
	v_add_f64 v[46:47], v[220:221], v[232:233]
	s_delay_alu instid0(VALU_DEP_4) | instskip(NEXT) | instid1(VALU_DEP_3)
	v_add_f64 v[4:5], v[12:13], v[4:5]
	v_mul_f64 v[64:65], v[20:21], s[10:11]
	s_delay_alu instid0(VALU_DEP_1) | instskip(SKIP_1) | instid1(VALU_DEP_2)
	v_fma_f64 v[66:67], v[46:47], s[16:17], v[64:65]
	v_fma_f64 v[12:13], v[46:47], s[16:17], -v[64:65]
	v_add_f64 v[56:57], v[66:67], v[56:57]
	v_mul_f64 v[66:67], v[28:29], s[8:9]
	s_delay_alu instid0(VALU_DEP_3) | instskip(NEXT) | instid1(VALU_DEP_2)
	v_add_f64 v[12:13], v[12:13], v[10:11]
	v_fma_f64 v[70:71], v[68:69], s[12:13], -v[66:67]
	v_fma_f64 v[10:11], v[68:69], s[12:13], v[66:67]
	s_delay_alu instid0(VALU_DEP_2) | instskip(SKIP_1) | instid1(VALU_DEP_3)
	v_add_f64 v[200:201], v[70:71], v[62:63]
	v_add_f64 v[70:71], v[222:223], -v[226:227]
	v_add_f64 v[10:11], v[10:11], v[4:5]
	v_mul_f64 v[4:5], v[6:7], s[14:15]
	s_delay_alu instid0(VALU_DEP_3) | instskip(NEXT) | instid1(VALU_DEP_1)
	v_mul_f64 v[62:63], v[70:71], s[8:9]
	v_fma_f64 v[74:75], v[72:73], s[12:13], v[62:63]
	v_fma_f64 v[22:23], v[72:73], s[12:13], -v[62:63]
	s_delay_alu instid0(VALU_DEP_2) | instskip(SKIP_1) | instid1(VALU_DEP_3)
	v_add_f64 v[202:203], v[74:75], v[56:57]
	v_mul_f64 v[56:57], v[8:9], s[14:15]
	v_add_f64 v[12:13], v[22:23], v[12:13]
	v_fma_f64 v[22:23], v[254:255], s[22:23], -v[4:5]
	v_fma_f64 v[4:5], v[254:255], s[22:23], v[4:5]
	s_delay_alu instid0(VALU_DEP_4) | instskip(NEXT) | instid1(VALU_DEP_3)
	v_fma_f64 v[60:61], v[0:1], s[22:23], v[56:57]
	v_add_f64 v[22:23], v[22:23], v[204:205]
	v_mul_f64 v[204:205], v[28:29], s[36:37]
	s_delay_alu instid0(VALU_DEP_4) | instskip(NEXT) | instid1(VALU_DEP_4)
	v_add_f64 v[4:5], v[4:5], v[48:49]
	v_add_f64 v[18:19], v[60:61], v[18:19]
	v_mul_f64 v[60:61], v[30:31], s[8:9]
	s_delay_alu instid0(VALU_DEP_1) | instskip(NEXT) | instid1(VALU_DEP_1)
	v_fma_f64 v[62:63], v[14:15], s[12:13], -v[60:61]
	v_add_f64 v[22:23], v[62:63], v[22:23]
	v_mul_f64 v[62:63], v[32:33], s[8:9]
	s_delay_alu instid0(VALU_DEP_1) | instskip(NEXT) | instid1(VALU_DEP_1)
	v_fma_f64 v[64:65], v[16:17], s[12:13], v[62:63]
	v_add_f64 v[18:19], v[64:65], v[18:19]
	v_mul_f64 v[64:65], v[50:51], s[38:39]
	s_delay_alu instid0(VALU_DEP_1) | instskip(NEXT) | instid1(VALU_DEP_1)
	v_fma_f64 v[66:67], v[38:39], s[16:17], -v[64:65]
	v_add_f64 v[22:23], v[66:67], v[22:23]
	v_mul_f64 v[66:67], v[2:3], s[38:39]
	s_delay_alu instid0(VALU_DEP_1) | instskip(NEXT) | instid1(VALU_DEP_1)
	v_fma_f64 v[74:75], v[40:41], s[16:17], v[66:67]
	;; [unrolled: 8-line block ×3, first 2 shown]
	v_add_f64 v[18:19], v[104:105], v[18:19]
	v_fma_f64 v[104:105], v[68:69], s[28:29], -v[204:205]
	s_delay_alu instid0(VALU_DEP_1) | instskip(SKIP_1) | instid1(VALU_DEP_1)
	v_add_f64 v[104:105], v[104:105], v[22:23]
	v_mul_f64 v[22:23], v[70:71], s[36:37]
	v_fma_f64 v[106:107], v[72:73], s[28:29], v[22:23]
	v_fma_f64 v[48:49], v[72:73], s[28:29], -v[22:23]
	s_delay_alu instid0(VALU_DEP_2) | instskip(SKIP_1) | instid1(VALU_DEP_1)
	v_add_f64 v[106:107], v[106:107], v[18:19]
	v_fma_f64 v[18:19], v[0:1], s[22:23], -v[56:57]
	v_add_f64 v[18:19], v[18:19], v[24:25]
	v_fma_f64 v[24:25], v[14:15], s[12:13], v[60:61]
	s_delay_alu instid0(VALU_DEP_1) | instskip(SKIP_1) | instid1(VALU_DEP_1)
	v_add_f64 v[4:5], v[24:25], v[4:5]
	v_fma_f64 v[24:25], v[16:17], s[12:13], -v[62:63]
	v_add_f64 v[18:19], v[24:25], v[18:19]
	v_fma_f64 v[24:25], v[38:39], s[16:17], v[64:65]
	s_delay_alu instid0(VALU_DEP_1) | instskip(SKIP_1) | instid1(VALU_DEP_1)
	;; [unrolled: 5-line block ×3, first 2 shown]
	v_add_f64 v[4:5], v[24:25], v[4:5]
	v_fma_f64 v[24:25], v[46:47], s[26:27], -v[100:101]
	v_add_f64 v[18:19], v[24:25], v[18:19]
	v_fma_f64 v[24:25], v[68:69], s[28:29], v[204:205]
	v_mul_f64 v[204:205], v[28:29], s[10:11]
	s_delay_alu instid0(VALU_DEP_2) | instskip(NEXT) | instid1(VALU_DEP_4)
	v_add_f64 v[22:23], v[24:25], v[4:5]
	v_add_f64 v[24:25], v[48:49], v[18:19]
	v_mul_f64 v[48:49], v[8:9], s[8:9]
	v_mul_f64 v[4:5], v[6:7], s[8:9]
	s_delay_alu instid0(VALU_DEP_2) | instskip(NEXT) | instid1(VALU_DEP_2)
	v_fma_f64 v[56:57], v[0:1], s[12:13], v[48:49]
	v_fma_f64 v[18:19], v[254:255], s[12:13], -v[4:5]
	v_fma_f64 v[4:5], v[254:255], s[12:13], v[4:5]
	s_delay_alu instid0(VALU_DEP_3) | instskip(SKIP_1) | instid1(VALU_DEP_4)
	v_add_f64 v[42:43], v[56:57], v[42:43]
	v_mul_f64 v[56:57], v[30:31], s[40:41]
	v_add_f64 v[18:19], v[18:19], v[102:103]
	s_delay_alu instid0(VALU_DEP_4) | instskip(SKIP_1) | instid1(VALU_DEP_4)
	v_add_f64 v[4:5], v[4:5], v[36:37]
	v_fma_f64 v[36:37], v[0:1], s[12:13], -v[48:49]
	v_fma_f64 v[60:61], v[14:15], s[22:23], -v[56:57]
	s_delay_alu instid0(VALU_DEP_2) | instskip(SKIP_1) | instid1(VALU_DEP_3)
	v_add_f64 v[34:35], v[36:37], v[34:35]
	v_fma_f64 v[36:37], v[14:15], s[22:23], v[56:57]
	v_add_f64 v[18:19], v[60:61], v[18:19]
	v_mul_f64 v[60:61], v[32:33], s[40:41]
	s_delay_alu instid0(VALU_DEP_3) | instskip(NEXT) | instid1(VALU_DEP_2)
	v_add_f64 v[4:5], v[36:37], v[4:5]
	v_fma_f64 v[62:63], v[16:17], s[22:23], v[60:61]
	v_fma_f64 v[36:37], v[16:17], s[22:23], -v[60:61]
	v_mul_f64 v[60:61], v[30:31], s[36:37]
	s_delay_alu instid0(VALU_DEP_3) | instskip(SKIP_1) | instid1(VALU_DEP_4)
	v_add_f64 v[42:43], v[62:63], v[42:43]
	v_mul_f64 v[62:63], v[50:51], s[36:37]
	v_add_f64 v[34:35], v[36:37], v[34:35]
	s_delay_alu instid0(VALU_DEP_2) | instskip(SKIP_2) | instid1(VALU_DEP_3)
	v_fma_f64 v[64:65], v[38:39], s[28:29], -v[62:63]
	v_fma_f64 v[36:37], v[38:39], s[28:29], v[62:63]
	v_mul_f64 v[62:63], v[32:33], s[36:37]
	v_add_f64 v[18:19], v[64:65], v[18:19]
	v_mul_f64 v[64:65], v[2:3], s[36:37]
	s_delay_alu instid0(VALU_DEP_4) | instskip(NEXT) | instid1(VALU_DEP_2)
	v_add_f64 v[4:5], v[36:37], v[4:5]
	v_fma_f64 v[66:67], v[40:41], s[28:29], v[64:65]
	v_fma_f64 v[36:37], v[40:41], s[28:29], -v[64:65]
	v_mul_f64 v[64:65], v[50:51], s[20:21]
	s_delay_alu instid0(VALU_DEP_3) | instskip(SKIP_1) | instid1(VALU_DEP_4)
	v_add_f64 v[42:43], v[66:67], v[42:43]
	v_mul_f64 v[66:67], v[52:53], s[18:19]
	v_add_f64 v[34:35], v[36:37], v[34:35]
	s_delay_alu instid0(VALU_DEP_2) | instskip(SKIP_2) | instid1(VALU_DEP_3)
	v_fma_f64 v[74:75], v[44:45], s[24:25], -v[66:67]
	v_fma_f64 v[36:37], v[44:45], s[24:25], v[66:67]
	v_mul_f64 v[66:67], v[2:3], s[20:21]
	v_add_f64 v[18:19], v[74:75], v[18:19]
	v_mul_f64 v[74:75], v[20:21], s[18:19]
	s_delay_alu instid0(VALU_DEP_4) | instskip(NEXT) | instid1(VALU_DEP_2)
	v_add_f64 v[4:5], v[36:37], v[4:5]
	v_fma_f64 v[100:101], v[46:47], s[24:25], v[74:75]
	v_fma_f64 v[36:37], v[46:47], s[24:25], -v[74:75]
	v_mul_f64 v[74:75], v[52:53], s[44:45]
	s_delay_alu instid0(VALU_DEP_3) | instskip(SKIP_1) | instid1(VALU_DEP_4)
	v_add_f64 v[42:43], v[100:101], v[42:43]
	v_fma_f64 v[100:101], v[68:69], s[16:17], -v[204:205]
	v_add_f64 v[36:37], v[36:37], v[34:35]
	v_fma_f64 v[34:35], v[68:69], s[16:17], v[204:205]
	v_mul_f64 v[204:205], v[20:21], s[44:45]
	s_delay_alu instid0(VALU_DEP_4) | instskip(SKIP_1) | instid1(VALU_DEP_4)
	v_add_f64 v[100:101], v[100:101], v[18:19]
	v_mul_f64 v[18:19], v[70:71], s[10:11]
	v_add_f64 v[34:35], v[34:35], v[4:5]
	v_mul_f64 v[4:5], v[6:7], s[38:39]
	s_delay_alu instid0(VALU_DEP_3) | instskip(SKIP_1) | instid1(VALU_DEP_2)
	v_fma_f64 v[102:103], v[72:73], s[16:17], v[18:19]
	v_fma_f64 v[18:19], v[72:73], s[16:17], -v[18:19]
	v_add_f64 v[102:103], v[102:103], v[42:43]
	v_mul_f64 v[42:43], v[8:9], s[38:39]
	s_delay_alu instid0(VALU_DEP_3) | instskip(SKIP_2) | instid1(VALU_DEP_4)
	v_add_f64 v[36:37], v[18:19], v[36:37]
	v_fma_f64 v[18:19], v[254:255], s[16:17], -v[4:5]
	v_fma_f64 v[4:5], v[254:255], s[16:17], v[4:5]
	v_fma_f64 v[48:49], v[0:1], s[16:17], v[42:43]
	v_fma_f64 v[42:43], v[0:1], s[16:17], -v[42:43]
	s_delay_alu instid0(VALU_DEP_4) | instskip(SKIP_1) | instid1(VALU_DEP_4)
	v_add_f64 v[18:19], v[18:19], v[206:207]
	v_mul_f64 v[206:207], v[28:29], s[42:43]
	v_add_f64 v[48:49], v[48:49], v[54:55]
	v_fma_f64 v[54:55], v[14:15], s[28:29], -v[60:61]
	v_add_f64 v[42:43], v[42:43], v[80:81]
	v_mul_f64 v[80:81], v[28:29], s[14:15]
	v_mul_f64 v[28:29], v[28:29], s[34:35]
	s_delay_alu instid0(VALU_DEP_4) | instskip(SKIP_1) | instid1(VALU_DEP_1)
	v_add_f64 v[18:19], v[54:55], v[18:19]
	v_fma_f64 v[54:55], v[16:17], s[28:29], v[62:63]
	v_add_f64 v[48:49], v[54:55], v[48:49]
	v_fma_f64 v[54:55], v[38:39], s[26:27], -v[64:65]
	s_delay_alu instid0(VALU_DEP_1) | instskip(SKIP_1) | instid1(VALU_DEP_1)
	v_add_f64 v[18:19], v[54:55], v[18:19]
	v_fma_f64 v[54:55], v[40:41], s[26:27], v[66:67]
	v_add_f64 v[48:49], v[54:55], v[48:49]
	v_fma_f64 v[54:55], v[44:45], s[12:13], -v[74:75]
	s_delay_alu instid0(VALU_DEP_1) | instskip(SKIP_1) | instid1(VALU_DEP_1)
	;; [unrolled: 5-line block ×3, first 2 shown]
	v_add_f64 v[54:55], v[54:55], v[18:19]
	v_mul_f64 v[18:19], v[70:71], s[42:43]
	v_fma_f64 v[56:57], v[72:73], s[24:25], v[18:19]
	v_fma_f64 v[18:19], v[72:73], s[24:25], -v[18:19]
	s_delay_alu instid0(VALU_DEP_2) | instskip(SKIP_4) | instid1(VALU_DEP_1)
	v_add_f64 v[56:57], v[56:57], v[48:49]
	scratch_load_b64 v[48:49], off, off offset:448 ; 8-byte Folded Reload
	s_waitcnt vmcnt(0)
	v_add_f64 v[4:5], v[4:5], v[48:49]
	v_fma_f64 v[48:49], v[14:15], s[28:29], v[60:61]
	v_add_f64 v[4:5], v[48:49], v[4:5]
	v_fma_f64 v[48:49], v[16:17], s[28:29], -v[62:63]
	s_delay_alu instid0(VALU_DEP_1) | instskip(SKIP_3) | instid1(VALU_DEP_3)
	v_add_f64 v[42:43], v[48:49], v[42:43]
	v_fma_f64 v[48:49], v[38:39], s[26:27], v[64:65]
	v_mul_f64 v[64:65], v[30:31], s[18:19]
	v_mul_f64 v[30:31], v[30:31], s[10:11]
	v_add_f64 v[4:5], v[48:49], v[4:5]
	v_fma_f64 v[48:49], v[40:41], s[26:27], -v[66:67]
	s_delay_alu instid0(VALU_DEP_4) | instskip(SKIP_2) | instid1(VALU_DEP_4)
	v_fma_f64 v[60:61], v[14:15], s[24:25], -v[64:65]
	v_mul_f64 v[66:67], v[32:33], s[18:19]
	v_mul_f64 v[32:33], v[32:33], s[10:11]
	v_add_f64 v[42:43], v[48:49], v[42:43]
	v_fma_f64 v[48:49], v[44:45], s[12:13], v[74:75]
	v_mul_f64 v[74:75], v[50:51], s[44:45]
	s_delay_alu instid0(VALU_DEP_2) | instskip(SKIP_1) | instid1(VALU_DEP_1)
	v_add_f64 v[4:5], v[48:49], v[4:5]
	v_fma_f64 v[48:49], v[46:47], s[12:13], -v[204:205]
	v_add_f64 v[42:43], v[48:49], v[42:43]
	v_fma_f64 v[48:49], v[68:69], s[24:25], v[206:207]
	s_delay_alu instid0(VALU_DEP_2) | instskip(NEXT) | instid1(VALU_DEP_2)
	v_add_f64 v[206:207], v[18:19], v[42:43]
	v_add_f64 v[204:205], v[48:49], v[4:5]
	v_mul_f64 v[4:5], v[6:7], s[34:35]
	v_mul_f64 v[42:43], v[8:9], s[34:35]
	;; [unrolled: 1-line block ×4, first 2 shown]
	s_delay_alu instid0(VALU_DEP_4) | instskip(NEXT) | instid1(VALU_DEP_4)
	v_fma_f64 v[18:19], v[254:255], s[26:27], -v[4:5]
	v_fma_f64 v[48:49], v[0:1], s[26:27], v[42:43]
	v_fma_f64 v[4:5], v[254:255], s[26:27], v[4:5]
	v_fma_f64 v[42:43], v[0:1], s[26:27], -v[42:43]
	s_delay_alu instid0(VALU_DEP_4) | instskip(NEXT) | instid1(VALU_DEP_4)
	v_add_f64 v[18:19], v[18:19], v[78:79]
	v_add_f64 v[48:49], v[48:49], v[76:77]
	v_mul_f64 v[76:77], v[52:53], s[36:37]
	v_mul_f64 v[78:79], v[20:21], s[36:37]
	;; [unrolled: 1-line block ×3, first 2 shown]
	v_add_f64 v[18:19], v[60:61], v[18:19]
	v_fma_f64 v[60:61], v[16:17], s[24:25], v[66:67]
	s_delay_alu instid0(VALU_DEP_1) | instskip(SKIP_1) | instid1(VALU_DEP_1)
	v_add_f64 v[48:49], v[60:61], v[48:49]
	v_fma_f64 v[60:61], v[38:39], s[12:13], -v[74:75]
	v_add_f64 v[18:19], v[60:61], v[18:19]
	v_fma_f64 v[60:61], v[40:41], s[12:13], v[250:251]
	s_delay_alu instid0(VALU_DEP_1) | instskip(SKIP_1) | instid1(VALU_DEP_1)
	v_add_f64 v[48:49], v[60:61], v[48:49]
	v_fma_f64 v[60:61], v[44:45], s[28:29], -v[76:77]
	;; [unrolled: 5-line block ×3, first 2 shown]
	v_add_f64 v[60:61], v[60:61], v[18:19]
	v_mul_f64 v[18:19], v[70:71], s[14:15]
	s_delay_alu instid0(VALU_DEP_1) | instskip(SKIP_1) | instid1(VALU_DEP_2)
	v_fma_f64 v[62:63], v[72:73], s[22:23], v[18:19]
	v_fma_f64 v[18:19], v[72:73], s[22:23], -v[18:19]
	v_add_f64 v[62:63], v[62:63], v[48:49]
	scratch_load_b64 v[48:49], off, off offset:440 ; 8-byte Folded Reload
	s_waitcnt vmcnt(0)
	v_add_f64 v[4:5], v[4:5], v[48:49]
	scratch_load_b64 v[48:49], off, off offset:432 ; 8-byte Folded Reload
	s_waitcnt vmcnt(0)
	v_add_f64 v[42:43], v[42:43], v[48:49]
	v_fma_f64 v[48:49], v[14:15], s[24:25], v[64:65]
	s_delay_alu instid0(VALU_DEP_1) | instskip(SKIP_1) | instid1(VALU_DEP_1)
	v_add_f64 v[4:5], v[48:49], v[4:5]
	v_fma_f64 v[48:49], v[16:17], s[24:25], -v[66:67]
	v_add_f64 v[42:43], v[48:49], v[42:43]
	v_fma_f64 v[48:49], v[38:39], s[12:13], v[74:75]
	s_delay_alu instid0(VALU_DEP_1) | instskip(SKIP_1) | instid1(VALU_DEP_1)
	v_add_f64 v[4:5], v[48:49], v[4:5]
	v_fma_f64 v[48:49], v[40:41], s[12:13], -v[250:251]
	;; [unrolled: 5-line block ×3, first 2 shown]
	v_add_f64 v[42:43], v[48:49], v[42:43]
	v_fma_f64 v[48:49], v[68:69], s[22:23], v[80:81]
	s_delay_alu instid0(VALU_DEP_2)
	v_add_f64 v[66:67], v[18:19], v[42:43]
	s_clause 0x1
	scratch_load_b64 v[18:19], off, off offset:424
	scratch_load_b64 v[42:43], off, off offset:416
	v_add_f64 v[64:65], v[48:49], v[4:5]
	v_fma_f64 v[4:5], v[254:255], s[28:29], -v[6:7]
	v_fma_f64 v[6:7], v[254:255], s[28:29], v[6:7]
	s_waitcnt vmcnt(1)
	s_delay_alu instid0(VALU_DEP_2) | instskip(SKIP_4) | instid1(VALU_DEP_3)
	v_add_f64 v[4:5], v[4:5], v[18:19]
	v_fma_f64 v[18:19], v[0:1], s[28:29], v[8:9]
	v_fma_f64 v[0:1], v[0:1], s[28:29], -v[8:9]
	v_fma_f64 v[8:9], v[14:15], s[16:17], v[30:31]
	s_waitcnt vmcnt(0)
	v_add_f64 v[18:19], v[18:19], v[42:43]
	v_fma_f64 v[42:43], v[14:15], s[16:17], -v[30:31]
	v_fma_f64 v[14:15], v[16:17], s[16:17], -v[32:33]
	s_delay_alu instid0(VALU_DEP_2) | instskip(SKIP_4) | instid1(VALU_DEP_1)
	v_add_f64 v[4:5], v[42:43], v[4:5]
	v_fma_f64 v[42:43], v[16:17], s[16:17], v[32:33]
	scratch_load_b64 v[16:17], off, off offset:400 ; 8-byte Folded Reload
	v_add_f64 v[18:19], v[42:43], v[18:19]
	v_mul_f64 v[42:43], v[50:51], s[42:43]
	v_fma_f64 v[48:49], v[38:39], s[24:25], -v[42:43]
	s_delay_alu instid0(VALU_DEP_1) | instskip(SKIP_1) | instid1(VALU_DEP_1)
	v_add_f64 v[4:5], v[48:49], v[4:5]
	v_mul_f64 v[48:49], v[2:3], s[42:43]
	v_fma_f64 v[30:31], v[40:41], s[24:25], -v[48:49]
	v_fma_f64 v[2:3], v[40:41], s[24:25], v[48:49]
	s_delay_alu instid0(VALU_DEP_1) | instskip(SKIP_2) | instid1(VALU_DEP_2)
	v_add_f64 v[2:3], v[2:3], v[18:19]
	v_mul_f64 v[18:19], v[52:53], s[14:15]
	v_mul_f64 v[52:53], v[70:71], s[34:35]
	v_fma_f64 v[50:51], v[44:45], s[22:23], -v[18:19]
	s_delay_alu instid0(VALU_DEP_1) | instskip(SKIP_1) | instid1(VALU_DEP_1)
	v_add_f64 v[4:5], v[50:51], v[4:5]
	v_fma_f64 v[50:51], v[46:47], s[22:23], v[20:21]
	v_add_f64 v[50:51], v[50:51], v[2:3]
	v_fma_f64 v[2:3], v[68:69], s[26:27], -v[28:29]
	s_waitcnt vmcnt(0)
	v_add_f64 v[6:7], v[6:7], v[16:17]
	scratch_load_b64 v[16:17], off, off offset:408 ; 8-byte Folded Reload
	v_add_f64 v[2:3], v[2:3], v[4:5]
	v_fma_f64 v[4:5], v[72:73], s[26:27], v[52:53]
	v_add_f64 v[6:7], v[8:9], v[6:7]
	v_fma_f64 v[8:9], v[44:45], s[22:23], v[18:19]
	v_fma_f64 v[18:19], v[72:73], s[26:27], -v[52:53]
	s_delay_alu instid0(VALU_DEP_4) | instskip(SKIP_3) | instid1(VALU_DEP_2)
	v_add_f64 v[4:5], v[4:5], v[50:51]
	s_waitcnt vmcnt(0)
	v_add_f64 v[0:1], v[0:1], v[16:17]
	v_fma_f64 v[16:17], v[38:39], s[24:25], v[42:43]
	v_add_f64 v[0:1], v[14:15], v[0:1]
	v_fma_f64 v[14:15], v[46:47], s[22:23], -v[20:21]
	s_delay_alu instid0(VALU_DEP_3) | instskip(SKIP_1) | instid1(VALU_DEP_4)
	v_add_f64 v[6:7], v[16:17], v[6:7]
	v_fma_f64 v[16:17], v[68:69], s[26:27], v[28:29]
	v_add_f64 v[0:1], v[30:31], v[0:1]
	s_delay_alu instid0(VALU_DEP_3) | instskip(NEXT) | instid1(VALU_DEP_2)
	v_add_f64 v[6:7], v[8:9], v[6:7]
	v_add_f64 v[0:1], v[14:15], v[0:1]
	scratch_load_b64 v[14:15], off, off offset:392 ; 8-byte Folded Reload
	v_add_f64 v[6:7], v[16:17], v[6:7]
	v_add_f64 v[8:9], v[18:19], v[0:1]
	;; [unrolled: 1-line block ×3, first 2 shown]
	s_delay_alu instid0(VALU_DEP_1) | instskip(NEXT) | instid1(VALU_DEP_1)
	v_add_f64 v[0:1], v[0:1], v[210:211]
	v_add_f64 v[0:1], v[0:1], v[214:215]
	s_delay_alu instid0(VALU_DEP_1) | instskip(NEXT) | instid1(VALU_DEP_1)
	v_add_f64 v[0:1], v[0:1], v[218:219]
	v_add_f64 v[0:1], v[0:1], v[222:223]
	;; [unrolled: 3-line block ×3, first 2 shown]
	s_delay_alu instid0(VALU_DEP_1) | instskip(SKIP_2) | instid1(VALU_DEP_2)
	v_add_f64 v[0:1], v[0:1], v[234:235]
	s_waitcnt vmcnt(0)
	v_add_f64 v[14:15], v[14:15], v[208:209]
	v_add_f64 v[0:1], v[0:1], v[238:239]
	s_delay_alu instid0(VALU_DEP_2) | instskip(NEXT) | instid1(VALU_DEP_2)
	v_add_f64 v[14:15], v[14:15], v[212:213]
	v_add_f64 v[0:1], v[0:1], v[242:243]
	s_delay_alu instid0(VALU_DEP_2) | instskip(NEXT) | instid1(VALU_DEP_1)
	v_add_f64 v[14:15], v[14:15], v[216:217]
	v_add_f64 v[14:15], v[14:15], v[220:221]
	s_delay_alu instid0(VALU_DEP_1) | instskip(NEXT) | instid1(VALU_DEP_1)
	v_add_f64 v[14:15], v[14:15], v[224:225]
	v_add_f64 v[14:15], v[14:15], v[228:229]
	s_delay_alu instid0(VALU_DEP_1) | instskip(NEXT) | instid1(VALU_DEP_1)
	;; [unrolled: 3-line block ×3, first 2 shown]
	v_add_f64 v[14:15], v[14:15], v[240:241]
	v_add_f64 v[16:17], v[14:15], v[244:245]
	v_add_f64 v[14:15], v[0:1], v[248:249]
	s_delay_alu instid0(VALU_DEP_2)
	v_add_f64 v[16:17], v[16:17], v[246:247]
	ds_store_b128 v252, v[104:107] offset:4992
	ds_store_b128 v252, v[100:103] offset:7488
	;; [unrolled: 1-line block ×12, first 2 shown]
	ds_store_b128 v252, v[14:17]
	s_waitcnt lgkmcnt(0)
	s_waitcnt_vscnt null, 0x0
	s_barrier
	buffer_gl0_inv
	scratch_load_b64 v[0:1], off, off offset:384 ; 8-byte Folded Reload
	v_add_co_u32 v4, s1, 0x7ec0, v26
	s_delay_alu instid0(VALU_DEP_1)
	v_add_co_ci_u32_e64 v5, s1, 0, v27, s1
	s_waitcnt vmcnt(0)
	s_clause 0x1
	global_load_b128 v[0:3], v[0:1], off offset:3776
	global_load_b128 v[4:7], v[4:5], off offset:2496
	ds_load_b128 v[8:11], v252
	ds_load_b128 v[12:15], v252 offset:2496
	s_waitcnt vmcnt(1) lgkmcnt(1)
	v_mul_f64 v[16:17], v[10:11], v[2:3]
	v_mul_f64 v[2:3], v[8:9], v[2:3]
	s_delay_alu instid0(VALU_DEP_2) | instskip(NEXT) | instid1(VALU_DEP_2)
	v_fma_f64 v[200:201], v[8:9], v[0:1], -v[16:17]
	v_fma_f64 v[202:203], v[10:11], v[0:1], v[2:3]
	s_waitcnt vmcnt(0) lgkmcnt(0)
	v_mul_f64 v[0:1], v[14:15], v[6:7]
	v_mul_f64 v[2:3], v[12:13], v[6:7]
	s_delay_alu instid0(VALU_DEP_2) | instskip(NEXT) | instid1(VALU_DEP_2)
	v_fma_f64 v[204:205], v[12:13], v[4:5], -v[0:1]
	v_fma_f64 v[206:207], v[14:15], v[4:5], v[2:3]
	v_add_co_u32 v4, s1, 0x9000, v26
	s_delay_alu instid0(VALU_DEP_1)
	v_add_co_ci_u32_e64 v5, s1, 0, v27, s1
	s_clause 0x1
	global_load_b128 v[0:3], v[4:5], off offset:576
	global_load_b128 v[4:7], v[4:5], off offset:3072
	ds_load_b128 v[8:11], v252 offset:4992
	ds_load_b128 v[12:15], v252 offset:7488
	s_waitcnt vmcnt(1) lgkmcnt(1)
	v_mul_f64 v[16:17], v[10:11], v[2:3]
	v_mul_f64 v[2:3], v[8:9], v[2:3]
	s_delay_alu instid0(VALU_DEP_2) | instskip(NEXT) | instid1(VALU_DEP_2)
	v_fma_f64 v[208:209], v[8:9], v[0:1], -v[16:17]
	v_fma_f64 v[210:211], v[10:11], v[0:1], v[2:3]
	s_waitcnt vmcnt(0) lgkmcnt(0)
	v_mul_f64 v[0:1], v[14:15], v[6:7]
	v_mul_f64 v[2:3], v[12:13], v[6:7]
	s_delay_alu instid0(VALU_DEP_2) | instskip(NEXT) | instid1(VALU_DEP_2)
	v_fma_f64 v[212:213], v[12:13], v[4:5], -v[0:1]
	v_fma_f64 v[214:215], v[14:15], v[4:5], v[2:3]
	v_add_co_u32 v4, s1, 0xa000, v26
	s_delay_alu instid0(VALU_DEP_1)
	v_add_co_ci_u32_e64 v5, s1, 0, v27, s1
	s_clause 0x1
	global_load_b128 v[0:3], v[4:5], off offset:1472
	global_load_b128 v[4:7], v[4:5], off offset:3968
	ds_load_b128 v[8:11], v252 offset:9984
	ds_load_b128 v[12:15], v252 offset:12480
	s_waitcnt vmcnt(1) lgkmcnt(1)
	v_mul_f64 v[16:17], v[10:11], v[2:3]
	v_mul_f64 v[2:3], v[8:9], v[2:3]
	s_delay_alu instid0(VALU_DEP_2) | instskip(NEXT) | instid1(VALU_DEP_2)
	v_fma_f64 v[8:9], v[8:9], v[0:1], -v[16:17]
	v_fma_f64 v[10:11], v[10:11], v[0:1], v[2:3]
	s_waitcnt vmcnt(0) lgkmcnt(0)
	v_mul_f64 v[0:1], v[14:15], v[6:7]
	v_mul_f64 v[2:3], v[12:13], v[6:7]
	s_delay_alu instid0(VALU_DEP_2) | instskip(NEXT) | instid1(VALU_DEP_2)
	v_fma_f64 v[0:1], v[12:13], v[4:5], -v[0:1]
	v_fma_f64 v[2:3], v[14:15], v[4:5], v[2:3]
	v_add_co_u32 v4, s1, 0xb000, v26
	s_delay_alu instid0(VALU_DEP_1) | instskip(SKIP_1) | instid1(VALU_DEP_1)
	v_add_co_ci_u32_e64 v5, s1, 0, v27, s1
	v_add_co_u32 v24, s1, 0xc000, v26
	v_add_co_ci_u32_e64 v25, s1, 0, v27, s1
	s_clause 0x1
	global_load_b128 v[4:7], v[4:5], off offset:2368
	global_load_b128 v[12:15], v[24:25], off offset:768
	ds_load_b128 v[16:19], v252 offset:14976
	ds_load_b128 v[20:23], v252 offset:17472
	s_waitcnt vmcnt(1) lgkmcnt(1)
	v_mul_f64 v[28:29], v[18:19], v[6:7]
	v_mul_f64 v[6:7], v[16:17], v[6:7]
	s_delay_alu instid0(VALU_DEP_2) | instskip(NEXT) | instid1(VALU_DEP_2)
	v_fma_f64 v[16:17], v[16:17], v[4:5], -v[28:29]
	v_fma_f64 v[18:19], v[18:19], v[4:5], v[6:7]
	s_waitcnt vmcnt(0) lgkmcnt(0)
	v_mul_f64 v[4:5], v[22:23], v[14:15]
	v_mul_f64 v[6:7], v[20:21], v[14:15]
	s_delay_alu instid0(VALU_DEP_2) | instskip(SKIP_1) | instid1(VALU_DEP_1)
	v_fma_f64 v[4:5], v[20:21], v[12:13], -v[4:5]
	v_add_co_u32 v20, s1, 0xd000, v26
	v_add_co_ci_u32_e64 v21, s1, 0, v27, s1
	s_delay_alu instid0(VALU_DEP_4)
	v_fma_f64 v[6:7], v[22:23], v[12:13], v[6:7]
	s_clause 0x1
	global_load_b128 v[12:15], v[24:25], off offset:3264
	global_load_b128 v[20:23], v[20:21], off offset:1664
	ds_load_b128 v[28:31], v252 offset:19968
	ds_load_b128 v[32:35], v252 offset:22464
	s_waitcnt vmcnt(1) lgkmcnt(1)
	v_mul_f64 v[24:25], v[30:31], v[14:15]
	v_mul_f64 v[14:15], v[28:29], v[14:15]
	s_delay_alu instid0(VALU_DEP_2) | instskip(NEXT) | instid1(VALU_DEP_2)
	v_fma_f64 v[28:29], v[28:29], v[12:13], -v[24:25]
	v_fma_f64 v[30:31], v[30:31], v[12:13], v[14:15]
	s_waitcnt vmcnt(0) lgkmcnt(0)
	v_mul_f64 v[12:13], v[34:35], v[22:23]
	v_mul_f64 v[14:15], v[32:33], v[22:23]
	v_add_co_u32 v24, s1, 0xe000, v26
	s_delay_alu instid0(VALU_DEP_1) | instskip(NEXT) | instid1(VALU_DEP_4)
	v_add_co_ci_u32_e64 v25, s1, 0, v27, s1
	v_fma_f64 v[12:13], v[32:33], v[20:21], -v[12:13]
	s_delay_alu instid0(VALU_DEP_4)
	v_fma_f64 v[14:15], v[34:35], v[20:21], v[14:15]
	s_clause 0x1
	global_load_b128 v[20:23], v[24:25], off offset:64
	global_load_b128 v[32:35], v[24:25], off offset:2560
	ds_load_b128 v[36:39], v252 offset:24960
	ds_load_b128 v[40:43], v252 offset:27456
	s_waitcnt vmcnt(1) lgkmcnt(1)
	v_mul_f64 v[24:25], v[38:39], v[22:23]
	v_mul_f64 v[44:45], v[36:37], v[22:23]
	s_delay_alu instid0(VALU_DEP_2) | instskip(NEXT) | instid1(VALU_DEP_2)
	v_fma_f64 v[22:23], v[36:37], v[20:21], -v[24:25]
	v_fma_f64 v[24:25], v[38:39], v[20:21], v[44:45]
	s_waitcnt vmcnt(0) lgkmcnt(0)
	v_mul_f64 v[20:21], v[42:43], v[34:35]
	v_mul_f64 v[36:37], v[40:41], v[34:35]
	s_delay_alu instid0(VALU_DEP_2) | instskip(SKIP_1) | instid1(VALU_DEP_1)
	v_fma_f64 v[34:35], v[40:41], v[32:33], -v[20:21]
	v_add_co_u32 v20, s1, 0xf000, v26
	v_add_co_ci_u32_e64 v21, s1, 0, v27, s1
	s_delay_alu instid0(VALU_DEP_4)
	v_fma_f64 v[36:37], v[42:43], v[32:33], v[36:37]
	ds_load_b128 v[42:45], v252 offset:29952
	global_load_b128 v[38:41], v[20:21], off offset:960
	s_waitcnt vmcnt(0) lgkmcnt(0)
	v_mul_f64 v[20:21], v[44:45], v[40:41]
	v_mul_f64 v[26:27], v[42:43], v[40:41]
	s_delay_alu instid0(VALU_DEP_2) | instskip(NEXT) | instid1(VALU_DEP_2)
	v_fma_f64 v[40:41], v[42:43], v[38:39], -v[20:21]
	v_fma_f64 v[42:43], v[44:45], v[38:39], v[26:27]
	ds_store_b128 v252, v[200:203]
	ds_store_b128 v252, v[204:207] offset:2496
	ds_store_b128 v252, v[208:211] offset:4992
	;; [unrolled: 1-line block ×12, first 2 shown]
	s_waitcnt lgkmcnt(0)
	s_barrier
	buffer_gl0_inv
	ds_load_b128 v[200:203], v252
	ds_load_b128 v[204:207], v252 offset:2496
	ds_load_b128 v[208:211], v252 offset:4992
	;; [unrolled: 1-line block ×9, first 2 shown]
	s_waitcnt lgkmcnt(8)
	v_add_f64 v[0:1], v[200:201], v[204:205]
	v_add_f64 v[2:3], v[202:203], v[206:207]
	s_waitcnt lgkmcnt(1)
	v_add_f64 v[48:49], v[222:223], v[10:11]
	v_add_f64 v[50:51], v[222:223], -v[10:11]
	s_waitcnt lgkmcnt(0)
	v_add_f64 v[100:101], v[218:219], v[14:15]
	v_add_f64 v[40:41], v[226:227], v[230:231]
	v_add_f64 v[42:43], v[226:227], -v[230:231]
	v_add_f64 v[0:1], v[0:1], v[208:209]
	v_add_f64 v[2:3], v[2:3], v[210:211]
	s_delay_alu instid0(VALU_DEP_2) | instskip(NEXT) | instid1(VALU_DEP_2)
	v_add_f64 v[0:1], v[0:1], v[212:213]
	v_add_f64 v[2:3], v[2:3], v[214:215]
	s_delay_alu instid0(VALU_DEP_2) | instskip(NEXT) | instid1(VALU_DEP_2)
	;; [unrolled: 3-line block ×4, first 2 shown]
	v_add_f64 v[4:5], v[0:1], v[224:225]
	v_add_f64 v[6:7], v[2:3], v[226:227]
	;; [unrolled: 1-line block ×3, first 2 shown]
	v_add_f64 v[2:3], v[224:225], -v[228:229]
	s_delay_alu instid0(VALU_DEP_4) | instskip(NEXT) | instid1(VALU_DEP_4)
	v_add_f64 v[16:17], v[4:5], v[228:229]
	v_add_f64 v[18:19], v[6:7], v[230:231]
	;; [unrolled: 1-line block ×3, first 2 shown]
	v_add_f64 v[6:7], v[220:221], -v[8:9]
	s_delay_alu instid0(VALU_DEP_4) | instskip(NEXT) | instid1(VALU_DEP_4)
	v_add_f64 v[16:17], v[16:17], v[8:9]
	v_add_f64 v[18:19], v[18:19], v[10:11]
	;; [unrolled: 1-line block ×3, first 2 shown]
	v_add_f64 v[10:11], v[216:217], -v[12:13]
	v_add_f64 v[216:217], v[218:219], -v[14:15]
	v_add_f64 v[24:25], v[16:17], v[12:13]
	v_add_f64 v[26:27], v[18:19], v[14:15]
	ds_load_b128 v[16:19], v252 offset:24960
	ds_load_b128 v[20:23], v252 offset:27456
	s_waitcnt lgkmcnt(1)
	v_add_f64 v[12:13], v[212:213], v[16:17]
	v_add_f64 v[218:219], v[214:215], v[18:19]
	v_add_f64 v[14:15], v[212:213], -v[16:17]
	v_add_f64 v[212:213], v[214:215], -v[18:19]
	s_waitcnt lgkmcnt(0)
	v_add_f64 v[214:215], v[210:211], v[22:23]
	v_add_f64 v[220:221], v[210:211], -v[22:23]
	v_add_f64 v[24:25], v[24:25], v[16:17]
	v_add_f64 v[26:27], v[26:27], v[18:19]
	;; [unrolled: 1-line block ×3, first 2 shown]
	v_add_f64 v[18:19], v[208:209], -v[20:21]
	s_delay_alu instid0(VALU_DEP_4) | instskip(NEXT) | instid1(VALU_DEP_4)
	v_add_f64 v[24:25], v[24:25], v[20:21]
	v_add_f64 v[26:27], v[26:27], v[22:23]
	ds_load_b128 v[20:23], v252 offset:29952
	s_waitcnt lgkmcnt(0)
	s_barrier
	buffer_gl0_inv
	v_add_f64 v[28:29], v[206:207], -v[22:23]
	v_add_f64 v[30:31], v[204:205], v[20:21]
	v_add_f64 v[32:33], v[206:207], v[22:23]
	v_add_f64 v[34:35], v[204:205], -v[20:21]
	v_add_f64 v[204:205], v[24:25], v[20:21]
	v_add_f64 v[206:207], v[26:27], v[22:23]
	v_mul_f64 v[20:21], v[28:29], s[30:31]
	v_mul_f64 v[22:23], v[28:29], s[18:19]
	;; [unrolled: 1-line block ×10, first 2 shown]
	v_fma_f64 v[38:39], v[30:31], s[28:29], v[20:21]
	v_fma_f64 v[20:21], v[30:31], s[28:29], -v[20:21]
	v_fma_f64 v[44:45], v[30:31], s[24:25], v[22:23]
	v_fma_f64 v[22:23], v[30:31], s[24:25], -v[22:23]
	v_fma_f64 v[46:47], v[30:31], s[26:27], v[24:25]
	v_fma_f64 v[24:25], v[30:31], s[26:27], -v[24:25]
	v_fma_f64 v[56:57], v[30:31], s[22:23], v[26:27]
	v_fma_f64 v[26:27], v[30:31], s[22:23], -v[26:27]
	v_fma_f64 v[58:59], v[30:31], s[16:17], v[36:37]
	v_fma_f64 v[36:37], v[30:31], s[16:17], -v[36:37]
	v_fma_f64 v[60:61], v[30:31], s[12:13], v[28:29]
	v_fma_f64 v[28:29], v[30:31], s[12:13], -v[28:29]
	v_mul_f64 v[30:31], v[32:33], s[28:29]
	v_mul_f64 v[32:33], v[32:33], s[12:13]
	v_fma_f64 v[68:69], v[34:35], s[42:43], v[52:53]
	v_fma_f64 v[70:71], v[34:35], s[18:19], v[52:53]
	;; [unrolled: 1-line block ×8, first 2 shown]
	v_add_f64 v[52:53], v[200:201], v[20:21]
	v_add_f64 v[20:21], v[200:201], v[44:45]
	;; [unrolled: 1-line block ×6, first 2 shown]
	v_mul_f64 v[26:27], v[214:215], s[24:25]
	v_add_f64 v[230:231], v[200:201], v[58:59]
	v_add_f64 v[106:107], v[200:201], v[36:37]
	v_add_f64 v[46:47], v[200:201], v[60:61]
	v_fma_f64 v[66:67], v[34:35], s[36:37], v[30:31]
	v_fma_f64 v[30:31], v[34:35], s[30:31], v[30:31]
	;; [unrolled: 1-line block ×4, first 2 shown]
	v_add_f64 v[34:35], v[200:201], v[38:39]
	v_mul_f64 v[24:25], v[220:221], s[18:19]
	v_add_f64 v[70:71], v[202:203], v[70:71]
	v_add_f64 v[72:73], v[202:203], v[72:73]
	;; [unrolled: 1-line block ×7, first 2 shown]
	v_mul_f64 v[60:61], v[212:213], s[8:9]
	v_add_f64 v[38:39], v[202:203], v[66:67]
	v_add_f64 v[66:67], v[202:203], v[68:69]
	;; [unrolled: 1-line block ×4, first 2 shown]
	v_fma_f64 v[28:29], v[18:19], s[42:43], v[26:27]
	v_add_f64 v[102:103], v[202:203], v[32:33]
	v_fma_f64 v[22:23], v[16:17], s[24:25], v[24:25]
	v_add_f64 v[54:55], v[202:203], v[30:31]
	v_add_f64 v[44:45], v[202:203], v[80:81]
	v_mul_f64 v[80:81], v[42:43], s[8:9]
	v_mul_f64 v[202:203], v[40:41], s[12:13]
	v_fma_f64 v[62:63], v[12:13], s[12:13], v[60:61]
	v_fma_f64 v[60:61], v[12:13], s[12:13], -v[60:61]
	v_add_f64 v[32:33], v[28:29], v[38:39]
	v_mul_f64 v[28:29], v[212:213], s[20:21]
	v_add_f64 v[22:23], v[22:23], v[34:35]
	s_delay_alu instid0(VALU_DEP_2) | instskip(NEXT) | instid1(VALU_DEP_1)
	v_fma_f64 v[30:31], v[12:13], s[26:27], v[28:29]
	v_add_f64 v[22:23], v[30:31], v[22:23]
	v_mul_f64 v[30:31], v[218:219], s[26:27]
	s_delay_alu instid0(VALU_DEP_1) | instskip(NEXT) | instid1(VALU_DEP_1)
	v_fma_f64 v[34:35], v[14:15], s[34:35], v[30:31]
	v_add_f64 v[36:37], v[34:35], v[32:33]
	v_mul_f64 v[32:33], v[216:217], s[14:15]
	s_delay_alu instid0(VALU_DEP_1) | instskip(NEXT) | instid1(VALU_DEP_1)
	;; [unrolled: 4-line block ×5, first 2 shown]
	v_fma_f64 v[58:59], v[6:7], s[38:39], v[38:39]
	v_add_f64 v[56:57], v[58:59], v[56:57]
	v_fma_f64 v[58:59], v[0:1], s[12:13], v[80:81]
	s_delay_alu instid0(VALU_DEP_1) | instskip(SKIP_2) | instid1(VALU_DEP_2)
	v_add_f64 v[208:209], v[58:59], v[22:23]
	v_fma_f64 v[22:23], v[2:3], s[44:45], v[202:203]
	v_mul_f64 v[58:59], v[214:215], s[22:23]
	v_add_f64 v[210:211], v[22:23], v[56:57]
	v_mul_f64 v[56:57], v[220:221], s[14:15]
	s_delay_alu instid0(VALU_DEP_1) | instskip(SKIP_1) | instid1(VALU_DEP_2)
	v_fma_f64 v[22:23], v[16:17], s[22:23], v[56:57]
	v_fma_f64 v[56:57], v[16:17], s[22:23], -v[56:57]
	v_add_f64 v[20:21], v[22:23], v[20:21]
	v_fma_f64 v[22:23], v[18:19], s[40:41], v[58:59]
	s_delay_alu instid0(VALU_DEP_3)
	v_add_f64 v[56:57], v[56:57], v[68:69]
	v_fma_f64 v[58:59], v[18:19], s[14:15], v[58:59]
	v_mul_f64 v[68:69], v[212:213], s[40:41]
	v_add_f64 v[20:21], v[62:63], v[20:21]
	v_mul_f64 v[62:63], v[218:219], s[12:13]
	v_add_f64 v[22:23], v[22:23], v[66:67]
	v_add_f64 v[58:59], v[58:59], v[70:71]
	;; [unrolled: 1-line block ×3, first 2 shown]
	v_fma_f64 v[70:71], v[12:13], s[22:23], v[68:69]
	v_fma_f64 v[68:69], v[12:13], s[22:23], -v[68:69]
	v_fma_f64 v[64:65], v[14:15], s[44:45], v[62:63]
	v_fma_f64 v[60:61], v[14:15], s[8:9], v[62:63]
	s_delay_alu instid0(VALU_DEP_2) | instskip(SKIP_1) | instid1(VALU_DEP_3)
	v_add_f64 v[22:23], v[64:65], v[22:23]
	v_mul_f64 v[64:65], v[216:217], s[38:39]
	v_add_f64 v[58:59], v[60:61], v[58:59]
	s_delay_alu instid0(VALU_DEP_2) | instskip(SKIP_2) | instid1(VALU_DEP_3)
	v_fma_f64 v[66:67], v[8:9], s[16:17], v[64:65]
	v_fma_f64 v[60:61], v[8:9], s[16:17], -v[64:65]
	v_mul_f64 v[64:65], v[220:221], s[8:9]
	v_add_f64 v[20:21], v[66:67], v[20:21]
	v_mul_f64 v[66:67], v[100:101], s[16:17]
	s_delay_alu instid0(VALU_DEP_4) | instskip(NEXT) | instid1(VALU_DEP_2)
	v_add_f64 v[56:57], v[60:61], v[56:57]
	v_fma_f64 v[232:233], v[10:11], s[10:11], v[66:67]
	v_fma_f64 v[60:61], v[10:11], s[38:39], v[66:67]
	v_mul_f64 v[66:67], v[214:215], s[12:13]
	s_delay_alu instid0(VALU_DEP_3) | instskip(SKIP_1) | instid1(VALU_DEP_4)
	v_add_f64 v[22:23], v[232:233], v[22:23]
	v_mul_f64 v[232:233], v[50:51], s[34:35]
	v_add_f64 v[58:59], v[60:61], v[58:59]
	s_delay_alu instid0(VALU_DEP_2) | instskip(SKIP_1) | instid1(VALU_DEP_2)
	v_fma_f64 v[234:235], v[4:5], s[26:27], v[232:233]
	v_fma_f64 v[60:61], v[4:5], s[26:27], -v[232:233]
	v_add_f64 v[20:21], v[234:235], v[20:21]
	v_mul_f64 v[234:235], v[48:49], s[26:27]
	s_delay_alu instid0(VALU_DEP_3) | instskip(NEXT) | instid1(VALU_DEP_2)
	v_add_f64 v[56:57], v[60:61], v[56:57]
	v_fma_f64 v[236:237], v[6:7], s[20:21], v[234:235]
	v_fma_f64 v[60:61], v[6:7], s[34:35], v[234:235]
	s_delay_alu instid0(VALU_DEP_2) | instskip(SKIP_1) | instid1(VALU_DEP_3)
	v_add_f64 v[22:23], v[236:237], v[22:23]
	v_mul_f64 v[236:237], v[42:43], s[36:37]
	v_add_f64 v[58:59], v[60:61], v[58:59]
	s_delay_alu instid0(VALU_DEP_2) | instskip(SKIP_1) | instid1(VALU_DEP_2)
	v_fma_f64 v[238:239], v[0:1], s[28:29], v[236:237]
	v_fma_f64 v[60:61], v[0:1], s[28:29], -v[236:237]
	v_add_f64 v[20:21], v[238:239], v[20:21]
	v_mul_f64 v[238:239], v[40:41], s[28:29]
	s_delay_alu instid0(VALU_DEP_3) | instskip(SKIP_2) | instid1(VALU_DEP_4)
	v_add_f64 v[56:57], v[60:61], v[56:57]
	v_fma_f64 v[60:61], v[16:17], s[12:13], v[64:65]
	v_fma_f64 v[64:65], v[16:17], s[12:13], -v[64:65]
	v_fma_f64 v[62:63], v[2:3], s[36:37], v[238:239]
	v_fma_f64 v[240:241], v[2:3], s[30:31], v[238:239]
	s_delay_alu instid0(VALU_DEP_4) | instskip(NEXT) | instid1(VALU_DEP_4)
	v_add_f64 v[60:61], v[60:61], v[82:83]
	v_add_f64 v[64:65], v[64:65], v[222:223]
	s_delay_alu instid0(VALU_DEP_4) | instskip(SKIP_1) | instid1(VALU_DEP_4)
	v_add_f64 v[58:59], v[62:63], v[58:59]
	v_fma_f64 v[62:63], v[18:19], s[44:45], v[66:67]
	v_add_f64 v[60:61], v[70:71], v[60:61]
	v_mul_f64 v[70:71], v[218:219], s[22:23]
	v_fma_f64 v[66:67], v[18:19], s[8:9], v[66:67]
	v_add_f64 v[64:65], v[68:69], v[64:65]
	v_add_f64 v[22:23], v[240:241], v[22:23]
	;; [unrolled: 1-line block ×3, first 2 shown]
	v_fma_f64 v[72:73], v[14:15], s[14:15], v[70:71]
	v_add_f64 v[66:67], v[66:67], v[74:75]
	v_fma_f64 v[68:69], v[14:15], s[40:41], v[70:71]
	s_delay_alu instid0(VALU_DEP_3) | instskip(SKIP_1) | instid1(VALU_DEP_3)
	v_add_f64 v[62:63], v[72:73], v[62:63]
	v_mul_f64 v[72:73], v[216:217], s[36:37]
	v_add_f64 v[66:67], v[68:69], v[66:67]
	s_delay_alu instid0(VALU_DEP_2) | instskip(SKIP_2) | instid1(VALU_DEP_3)
	v_fma_f64 v[82:83], v[8:9], s[28:29], v[72:73]
	v_fma_f64 v[68:69], v[8:9], s[28:29], -v[72:73]
	v_mul_f64 v[72:73], v[214:215], s[16:17]
	v_add_f64 v[60:61], v[82:83], v[60:61]
	v_mul_f64 v[82:83], v[100:101], s[28:29]
	s_delay_alu instid0(VALU_DEP_4) | instskip(NEXT) | instid1(VALU_DEP_4)
	v_add_f64 v[64:65], v[68:69], v[64:65]
	v_fma_f64 v[74:75], v[18:19], s[10:11], v[72:73]
	v_fma_f64 v[72:73], v[18:19], s[38:39], v[72:73]
	s_delay_alu instid0(VALU_DEP_4) | instskip(SKIP_1) | instid1(VALU_DEP_4)
	v_fma_f64 v[232:233], v[10:11], s[30:31], v[82:83]
	v_fma_f64 v[68:69], v[10:11], s[36:37], v[82:83]
	v_add_f64 v[74:75], v[74:75], v[76:77]
	v_mul_f64 v[76:77], v[212:213], s[36:37]
	v_add_f64 v[72:73], v[72:73], v[228:229]
	v_add_f64 v[62:63], v[232:233], v[62:63]
	v_mul_f64 v[232:233], v[50:51], s[18:19]
	v_add_f64 v[66:67], v[68:69], v[66:67]
	v_fma_f64 v[82:83], v[12:13], s[28:29], v[76:77]
	s_delay_alu instid0(VALU_DEP_3) | instskip(SKIP_2) | instid1(VALU_DEP_3)
	v_fma_f64 v[234:235], v[4:5], s[24:25], v[232:233]
	v_fma_f64 v[68:69], v[4:5], s[24:25], -v[232:233]
	v_mul_f64 v[232:233], v[216:217], s[20:21]
	v_add_f64 v[60:61], v[234:235], v[60:61]
	v_mul_f64 v[234:235], v[48:49], s[24:25]
	s_delay_alu instid0(VALU_DEP_4) | instskip(NEXT) | instid1(VALU_DEP_2)
	v_add_f64 v[64:65], v[68:69], v[64:65]
	v_fma_f64 v[236:237], v[6:7], s[42:43], v[234:235]
	v_fma_f64 v[68:69], v[6:7], s[18:19], v[234:235]
	v_mul_f64 v[234:235], v[100:101], s[26:27]
	s_delay_alu instid0(VALU_DEP_3) | instskip(SKIP_1) | instid1(VALU_DEP_4)
	v_add_f64 v[62:63], v[236:237], v[62:63]
	v_mul_f64 v[236:237], v[42:43], s[10:11]
	v_add_f64 v[66:67], v[68:69], v[66:67]
	s_delay_alu instid0(VALU_DEP_2) | instskip(SKIP_2) | instid1(VALU_DEP_3)
	v_fma_f64 v[238:239], v[0:1], s[16:17], v[236:237]
	v_fma_f64 v[68:69], v[0:1], s[16:17], -v[236:237]
	v_mul_f64 v[236:237], v[50:51], s[44:45]
	v_add_f64 v[60:61], v[238:239], v[60:61]
	v_mul_f64 v[238:239], v[40:41], s[16:17]
	s_delay_alu instid0(VALU_DEP_4) | instskip(SKIP_1) | instid1(VALU_DEP_3)
	v_add_f64 v[64:65], v[68:69], v[64:65]
	v_mul_f64 v[68:69], v[220:221], s[38:39]
	v_fma_f64 v[70:71], v[2:3], s[10:11], v[238:239]
	v_fma_f64 v[240:241], v[2:3], s[38:39], v[238:239]
	v_mul_f64 v[238:239], v[48:49], s[12:13]
	s_delay_alu instid0(VALU_DEP_3) | instskip(SKIP_1) | instid1(VALU_DEP_4)
	v_add_f64 v[66:67], v[70:71], v[66:67]
	v_fma_f64 v[70:71], v[16:17], s[16:17], v[68:69]
	v_add_f64 v[62:63], v[240:241], v[62:63]
	v_mul_f64 v[240:241], v[42:43], s[42:43]
	v_fma_f64 v[68:69], v[16:17], s[16:17], -v[68:69]
	s_delay_alu instid0(VALU_DEP_4) | instskip(NEXT) | instid1(VALU_DEP_2)
	v_add_f64 v[70:71], v[70:71], v[224:225]
	v_add_f64 v[68:69], v[68:69], v[226:227]
	s_delay_alu instid0(VALU_DEP_2) | instskip(SKIP_1) | instid1(VALU_DEP_1)
	v_add_f64 v[70:71], v[82:83], v[70:71]
	v_mul_f64 v[82:83], v[218:219], s[28:29]
	v_fma_f64 v[222:223], v[14:15], s[30:31], v[82:83]
	s_delay_alu instid0(VALU_DEP_1) | instskip(SKIP_1) | instid1(VALU_DEP_1)
	v_add_f64 v[74:75], v[222:223], v[74:75]
	v_fma_f64 v[222:223], v[8:9], s[26:27], v[232:233]
	v_add_f64 v[70:71], v[222:223], v[70:71]
	v_fma_f64 v[222:223], v[10:11], s[34:35], v[234:235]
	s_delay_alu instid0(VALU_DEP_1) | instskip(SKIP_1) | instid1(VALU_DEP_1)
	v_add_f64 v[74:75], v[222:223], v[74:75]
	v_fma_f64 v[222:223], v[4:5], s[12:13], v[236:237]
	v_add_f64 v[70:71], v[222:223], v[70:71]
	;; [unrolled: 5-line block ×3, first 2 shown]
	v_mul_f64 v[70:71], v[40:41], s[24:25]
	s_delay_alu instid0(VALU_DEP_1) | instskip(SKIP_1) | instid1(VALU_DEP_2)
	v_fma_f64 v[224:225], v[2:3], s[18:19], v[70:71]
	v_fma_f64 v[70:71], v[2:3], s[42:43], v[70:71]
	v_add_f64 v[224:225], v[224:225], v[74:75]
	v_fma_f64 v[74:75], v[12:13], s[28:29], -v[76:77]
	v_mul_f64 v[76:77], v[212:213], s[18:19]
	s_delay_alu instid0(VALU_DEP_2) | instskip(SKIP_1) | instid1(VALU_DEP_1)
	v_add_f64 v[68:69], v[74:75], v[68:69]
	v_fma_f64 v[74:75], v[14:15], s[36:37], v[82:83]
	v_add_f64 v[72:73], v[74:75], v[72:73]
	v_fma_f64 v[74:75], v[8:9], s[26:27], -v[232:233]
	s_delay_alu instid0(VALU_DEP_1) | instskip(SKIP_2) | instid1(VALU_DEP_2)
	v_add_f64 v[68:69], v[74:75], v[68:69]
	v_fma_f64 v[74:75], v[10:11], s[20:21], v[234:235]
	v_mul_f64 v[234:235], v[100:101], s[12:13]
	v_add_f64 v[72:73], v[74:75], v[72:73]
	v_fma_f64 v[74:75], v[4:5], s[12:13], -v[236:237]
	v_mul_f64 v[236:237], v[50:51], s[36:37]
	v_mul_f64 v[50:51], v[50:51], s[14:15]
	s_delay_alu instid0(VALU_DEP_3) | instskip(SKIP_3) | instid1(VALU_DEP_3)
	v_add_f64 v[68:69], v[74:75], v[68:69]
	v_fma_f64 v[74:75], v[6:7], s[44:45], v[238:239]
	v_mul_f64 v[238:239], v[48:49], s[28:29]
	v_mul_f64 v[48:49], v[48:49], s[22:23]
	v_add_f64 v[72:73], v[74:75], v[72:73]
	v_fma_f64 v[74:75], v[0:1], s[24:25], -v[240:241]
	v_mul_f64 v[240:241], v[42:43], s[14:15]
	s_delay_alu instid0(VALU_DEP_3) | instskip(NEXT) | instid1(VALU_DEP_3)
	v_add_f64 v[228:229], v[70:71], v[72:73]
	v_add_f64 v[226:227], v[74:75], v[68:69]
	v_mul_f64 v[68:69], v[220:221], s[34:35]
	v_mul_f64 v[72:73], v[214:215], s[26:27]
	s_delay_alu instid0(VALU_DEP_2) | instskip(NEXT) | instid1(VALU_DEP_2)
	v_fma_f64 v[70:71], v[16:17], s[26:27], v[68:69]
	v_fma_f64 v[74:75], v[18:19], s[20:21], v[72:73]
	v_fma_f64 v[68:69], v[16:17], s[26:27], -v[68:69]
	v_fma_f64 v[72:73], v[18:19], s[34:35], v[72:73]
	s_delay_alu instid0(VALU_DEP_4) | instskip(NEXT) | instid1(VALU_DEP_4)
	v_add_f64 v[70:71], v[70:71], v[230:231]
	v_add_f64 v[74:75], v[74:75], v[78:79]
	v_fma_f64 v[78:79], v[12:13], s[24:25], v[76:77]
	v_add_f64 v[68:69], v[68:69], v[106:107]
	v_add_f64 v[72:73], v[72:73], v[104:105]
	s_delay_alu instid0(VALU_DEP_3) | instskip(SKIP_1) | instid1(VALU_DEP_1)
	v_add_f64 v[70:71], v[78:79], v[70:71]
	v_mul_f64 v[78:79], v[218:219], s[24:25]
	v_fma_f64 v[82:83], v[14:15], s[42:43], v[78:79]
	s_delay_alu instid0(VALU_DEP_1) | instskip(SKIP_1) | instid1(VALU_DEP_1)
	v_add_f64 v[74:75], v[82:83], v[74:75]
	v_mul_f64 v[82:83], v[216:217], s[44:45]
	v_fma_f64 v[230:231], v[8:9], s[12:13], v[82:83]
	s_delay_alu instid0(VALU_DEP_1) | instskip(SKIP_1) | instid1(VALU_DEP_1)
	v_add_f64 v[70:71], v[230:231], v[70:71]
	v_fma_f64 v[230:231], v[10:11], s[8:9], v[234:235]
	v_add_f64 v[74:75], v[230:231], v[74:75]
	v_fma_f64 v[230:231], v[4:5], s[28:29], v[236:237]
	s_delay_alu instid0(VALU_DEP_1) | instskip(SKIP_1) | instid1(VALU_DEP_1)
	v_add_f64 v[70:71], v[230:231], v[70:71]
	v_fma_f64 v[230:231], v[6:7], s[30:31], v[238:239]
	v_add_f64 v[74:75], v[230:231], v[74:75]
	v_fma_f64 v[230:231], v[0:1], s[22:23], v[240:241]
	s_delay_alu instid0(VALU_DEP_1) | instskip(SKIP_1) | instid1(VALU_DEP_1)
	v_add_f64 v[230:231], v[230:231], v[70:71]
	v_mul_f64 v[70:71], v[40:41], s[22:23]
	v_fma_f64 v[232:233], v[2:3], s[40:41], v[70:71]
	v_fma_f64 v[70:71], v[2:3], s[14:15], v[70:71]
	s_delay_alu instid0(VALU_DEP_2) | instskip(SKIP_1) | instid1(VALU_DEP_1)
	v_add_f64 v[232:233], v[232:233], v[74:75]
	v_fma_f64 v[74:75], v[12:13], s[24:25], -v[76:77]
	v_add_f64 v[68:69], v[74:75], v[68:69]
	v_fma_f64 v[74:75], v[14:15], s[18:19], v[78:79]
	s_delay_alu instid0(VALU_DEP_1) | instskip(SKIP_1) | instid1(VALU_DEP_1)
	v_add_f64 v[72:73], v[74:75], v[72:73]
	v_fma_f64 v[74:75], v[8:9], s[12:13], -v[82:83]
	v_add_f64 v[68:69], v[74:75], v[68:69]
	v_fma_f64 v[74:75], v[10:11], s[44:45], v[234:235]
	s_delay_alu instid0(VALU_DEP_1) | instskip(SKIP_1) | instid1(VALU_DEP_1)
	v_add_f64 v[72:73], v[74:75], v[72:73]
	v_fma_f64 v[74:75], v[4:5], s[28:29], -v[236:237]
	v_add_f64 v[68:69], v[74:75], v[68:69]
	v_fma_f64 v[74:75], v[6:7], s[36:37], v[238:239]
	s_delay_alu instid0(VALU_DEP_1) | instskip(SKIP_1) | instid1(VALU_DEP_2)
	v_add_f64 v[72:73], v[74:75], v[72:73]
	v_fma_f64 v[74:75], v[0:1], s[22:23], -v[240:241]
	v_add_f64 v[106:107], v[70:71], v[72:73]
	s_delay_alu instid0(VALU_DEP_2) | instskip(SKIP_1) | instid1(VALU_DEP_1)
	v_add_f64 v[104:105], v[74:75], v[68:69]
	v_mul_f64 v[68:69], v[220:221], s[36:37]
	v_fma_f64 v[70:71], v[16:17], s[28:29], v[68:69]
	s_delay_alu instid0(VALU_DEP_1) | instskip(SKIP_1) | instid1(VALU_DEP_1)
	v_add_f64 v[46:47], v[70:71], v[46:47]
	v_mul_f64 v[70:71], v[214:215], s[28:29]
	v_fma_f64 v[72:73], v[18:19], s[30:31], v[70:71]
	s_delay_alu instid0(VALU_DEP_1) | instskip(SKIP_1) | instid1(VALU_DEP_1)
	;; [unrolled: 4-line block ×4, first 2 shown]
	v_add_f64 v[44:45], v[76:77], v[44:45]
	v_mul_f64 v[76:77], v[216:217], s[42:43]
	v_fma_f64 v[78:79], v[8:9], s[24:25], v[76:77]
	s_delay_alu instid0(VALU_DEP_1) | instskip(SKIP_2) | instid1(VALU_DEP_2)
	v_add_f64 v[46:47], v[78:79], v[46:47]
	v_mul_f64 v[78:79], v[100:101], s[24:25]
	v_mul_f64 v[100:101], v[40:41], s[26:27]
	v_fma_f64 v[82:83], v[10:11], s[18:19], v[78:79]
	s_delay_alu instid0(VALU_DEP_1) | instskip(SKIP_3) | instid1(VALU_DEP_3)
	v_add_f64 v[44:45], v[82:83], v[44:45]
	v_fma_f64 v[82:83], v[4:5], s[22:23], v[50:51]
	v_fma_f64 v[50:51], v[4:5], s[22:23], -v[50:51]
	v_fma_f64 v[4:5], v[4:5], s[16:17], -v[36:37]
	v_add_f64 v[46:47], v[82:83], v[46:47]
	v_fma_f64 v[82:83], v[6:7], s[40:41], v[48:49]
	v_fma_f64 v[48:49], v[6:7], s[14:15], v[48:49]
	;; [unrolled: 1-line block ×3, first 2 shown]
	s_delay_alu instid0(VALU_DEP_3) | instskip(SKIP_2) | instid1(VALU_DEP_2)
	v_add_f64 v[44:45], v[82:83], v[44:45]
	v_mul_f64 v[82:83], v[42:43], s[34:35]
	v_fma_f64 v[42:43], v[2:3], s[20:21], v[100:101]
	v_fma_f64 v[40:41], v[0:1], s[26:27], v[82:83]
	s_delay_alu instid0(VALU_DEP_2)
	v_add_f64 v[42:43], v[42:43], v[44:45]
	v_fma_f64 v[44:45], v[16:17], s[28:29], -v[68:69]
	v_fma_f64 v[68:69], v[12:13], s[16:17], -v[72:73]
	;; [unrolled: 1-line block ×4, first 2 shown]
	v_add_f64 v[40:41], v[40:41], v[46:47]
	v_fma_f64 v[46:47], v[18:19], s[36:37], v[70:71]
	v_add_f64 v[44:45], v[44:45], v[200:201]
	v_fma_f64 v[18:19], v[18:19], s[18:19], v[26:27]
	v_add_f64 v[16:17], v[16:17], v[52:53]
	s_delay_alu instid0(VALU_DEP_4) | instskip(NEXT) | instid1(VALU_DEP_4)
	v_add_f64 v[46:47], v[46:47], v[102:103]
	v_add_f64 v[44:45], v[68:69], v[44:45]
	v_fma_f64 v[68:69], v[14:15], s[10:11], v[74:75]
	v_fma_f64 v[14:15], v[14:15], s[20:21], v[30:31]
	v_add_f64 v[18:19], v[18:19], v[54:55]
	v_add_f64 v[12:13], v[12:13], v[16:17]
	s_delay_alu instid0(VALU_DEP_4) | instskip(SKIP_3) | instid1(VALU_DEP_3)
	v_add_f64 v[46:47], v[68:69], v[46:47]
	v_fma_f64 v[68:69], v[8:9], s[24:25], -v[76:77]
	v_fma_f64 v[8:9], v[8:9], s[22:23], -v[32:33]
	v_add_f64 v[14:15], v[14:15], v[18:19]
	v_add_f64 v[44:45], v[68:69], v[44:45]
	v_fma_f64 v[68:69], v[10:11], s[42:43], v[78:79]
	v_fma_f64 v[10:11], v[10:11], s[14:15], v[34:35]
	v_add_f64 v[8:9], v[8:9], v[12:13]
	s_delay_alu instid0(VALU_DEP_4) | instskip(NEXT) | instid1(VALU_DEP_4)
	v_add_f64 v[44:45], v[50:51], v[44:45]
	v_add_f64 v[46:47], v[68:69], v[46:47]
	s_delay_alu instid0(VALU_DEP_4)
	v_add_f64 v[10:11], v[10:11], v[14:15]
	v_fma_f64 v[50:51], v[2:3], s[34:35], v[100:101]
	v_fma_f64 v[2:3], v[2:3], s[8:9], v[202:203]
	v_add_f64 v[4:5], v[4:5], v[8:9]
	v_add_f64 v[46:47], v[48:49], v[46:47]
	v_fma_f64 v[48:49], v[0:1], s[26:27], -v[82:83]
	v_fma_f64 v[0:1], v[0:1], s[12:13], -v[80:81]
	v_add_f64 v[6:7], v[6:7], v[10:11]
	s_delay_alu instid0(VALU_DEP_4) | instskip(NEXT) | instid1(VALU_DEP_4)
	v_add_f64 v[46:47], v[50:51], v[46:47]
	v_add_f64 v[44:45], v[48:49], v[44:45]
	s_delay_alu instid0(VALU_DEP_4) | instskip(NEXT) | instid1(VALU_DEP_4)
	v_add_f64 v[200:201], v[0:1], v[4:5]
	v_add_f64 v[202:203], v[2:3], v[6:7]
	ds_store_b128 v253, v[20:23] offset:32
	ds_store_b128 v253, v[60:63] offset:48
	;; [unrolled: 1-line block ×11, first 2 shown]
	ds_store_b128 v253, v[204:207]
	ds_store_b128 v253, v[200:203] offset:192
	s_waitcnt lgkmcnt(0)
	s_barrier
	buffer_gl0_inv
	ds_load_b128 v[212:215], v252
	ds_load_b128 v[208:211], v252 offset:2496
	ds_load_b128 v[232:235], v252 offset:16224
	;; [unrolled: 1-line block ×11, first 2 shown]
	s_and_saveexec_b32 s1, vcc_lo
	s_cbranch_execz .LBB0_11
; %bb.10:
	ds_load_b128 v[200:203], v252 offset:7488
	ds_load_b128 v[192:195], v252 offset:15600
	ds_load_b128 v[196:199], v252 offset:23712
	ds_load_b128 v[132:135], v252 offset:31824
.LBB0_11:
	s_or_b32 exec_lo, exec_lo, s1
	s_clause 0x7
	scratch_load_b128 v[20:23], off, off offset:344
	scratch_load_b128 v[40:43], off, off offset:324
	scratch_load_b128 v[24:27], off, off offset:292
	scratch_load_b128 v[44:47], off, off offset:308
	scratch_load_b128 v[28:31], off, off offset:276
	scratch_load_b128 v[48:51], off, off offset:260
	scratch_load_b128 v[32:35], off, off offset:244
	scratch_load_b128 v[36:39], off, off offset:228
	s_waitcnt lgkmcnt(7)
	v_mul_f64 v[0:1], v[98:99], v[246:247]
	v_mul_f64 v[2:3], v[98:99], v[244:245]
	;; [unrolled: 1-line block ×4, first 2 shown]
	s_waitcnt lgkmcnt(3)
	v_mul_f64 v[8:9], v[94:95], v[250:251]
	v_mul_f64 v[10:11], v[94:95], v[248:249]
	s_waitcnt vmcnt(0) lgkmcnt(0)
	s_barrier
	buffer_gl0_inv
	v_mul_f64 v[12:13], v[90:91], v[242:243]
	v_mul_f64 v[14:15], v[90:91], v[240:241]
	v_fma_f64 v[0:1], v[96:97], v[244:245], v[0:1]
	v_fma_f64 v[2:3], v[96:97], v[246:247], -v[2:3]
	v_fma_f64 v[4:5], v[84:85], v[232:233], v[4:5]
	v_fma_f64 v[6:7], v[84:85], v[234:235], -v[6:7]
	v_fma_f64 v[8:9], v[92:93], v[248:249], v[8:9]
	v_fma_f64 v[10:11], v[92:93], v[250:251], -v[10:11]
	v_fma_f64 v[12:13], v[88:89], v[240:241], v[12:13]
	v_fma_f64 v[14:15], v[88:89], v[242:243], -v[14:15]
	v_mul_f64 v[16:17], v[22:23], v[226:227]
	v_mul_f64 v[18:19], v[22:23], v[224:225]
	;; [unrolled: 1-line block ×3, first 2 shown]
	s_delay_alu instid0(VALU_DEP_3) | instskip(NEXT) | instid1(VALU_DEP_3)
	v_fma_f64 v[16:17], v[20:21], v[224:225], v[16:17]
	v_fma_f64 v[18:19], v[20:21], v[226:227], -v[18:19]
	v_mul_f64 v[20:21], v[26:27], v[238:239]
	s_delay_alu instid0(VALU_DEP_4)
	v_fma_f64 v[22:23], v[24:25], v[238:239], -v[22:23]
	v_mul_f64 v[26:27], v[30:31], v[228:229]
	v_add_f64 v[16:17], v[208:209], -v[16:17]
	v_add_f64 v[18:19], v[210:211], -v[18:19]
	v_fma_f64 v[20:21], v[24:25], v[236:237], v[20:21]
	v_mul_f64 v[24:25], v[30:31], v[230:231]
	v_fma_f64 v[26:27], v[28:29], v[230:231], -v[26:27]
	v_mul_f64 v[30:31], v[34:35], v[220:221]
	s_delay_alu instid0(VALU_DEP_3) | instskip(SKIP_1) | instid1(VALU_DEP_3)
	v_fma_f64 v[24:25], v[28:29], v[228:229], v[24:25]
	v_mul_f64 v[28:29], v[34:35], v[222:223]
	v_fma_f64 v[30:31], v[32:33], v[222:223], -v[30:31]
	v_mul_f64 v[34:35], v[38:39], v[216:217]
	s_delay_alu instid0(VALU_DEP_3) | instskip(SKIP_1) | instid1(VALU_DEP_3)
	;; [unrolled: 5-line block ×5, first 2 shown]
	v_fma_f64 v[40:41], v[44:45], v[196:197], v[40:41]
	v_mul_f64 v[44:45], v[50:51], v[134:135]
	v_fma_f64 v[46:47], v[48:49], v[134:135], -v[46:47]
	v_add_f64 v[50:51], v[214:215], -v[6:7]
	v_add_f64 v[6:7], v[2:3], -v[10:11]
	s_delay_alu instid0(VALU_DEP_4) | instskip(SKIP_2) | instid1(VALU_DEP_4)
	v_fma_f64 v[44:45], v[48:49], v[132:133], v[44:45]
	v_add_f64 v[48:49], v[212:213], -v[4:5]
	v_add_f64 v[4:5], v[0:1], -v[8:9]
	v_fma_f64 v[10:11], v[2:3], 2.0, -v[6:7]
	v_fma_f64 v[54:55], v[214:215], 2.0, -v[50:51]
	s_delay_alu instid0(VALU_DEP_4) | instskip(NEXT) | instid1(VALU_DEP_4)
	v_fma_f64 v[52:53], v[212:213], 2.0, -v[48:49]
	v_fma_f64 v[8:9], v[0:1], 2.0, -v[4:5]
	v_add_f64 v[0:1], v[48:49], v[6:7]
	v_add_f64 v[2:3], v[50:51], -v[4:5]
	v_add_f64 v[6:7], v[54:55], -v[10:11]
	s_delay_alu instid0(VALU_DEP_4) | instskip(NEXT) | instid1(VALU_DEP_4)
	v_add_f64 v[4:5], v[52:53], -v[8:9]
	v_fma_f64 v[8:9], v[48:49], 2.0, -v[0:1]
	scratch_load_b32 v48, off, off offset:360 ; 4-byte Folded Reload
	v_fma_f64 v[10:11], v[50:51], 2.0, -v[2:3]
	s_waitcnt vmcnt(0)
	ds_store_b128 v48, v[0:3] offset:624
	v_fma_f64 v[0:1], v[52:53], 2.0, -v[4:5]
	v_fma_f64 v[2:3], v[54:55], 2.0, -v[6:7]
	ds_store_b128 v48, v[4:7] offset:416
	ds_store_b128 v48, v[8:11] offset:208
	ds_store_b128 v48, v[0:3]
	scratch_load_b32 v48, off, off offset:340 ; 4-byte Folded Reload
	v_add_f64 v[6:7], v[12:13], -v[20:21]
	v_add_f64 v[4:5], v[14:15], -v[22:23]
	v_fma_f64 v[8:9], v[208:209], 2.0, -v[16:17]
	v_fma_f64 v[10:11], v[210:211], 2.0, -v[18:19]
	v_add_f64 v[20:21], v[36:37], -v[44:45]
	v_add_f64 v[22:23], v[38:39], -v[46:47]
	v_fma_f64 v[0:1], v[12:13], 2.0, -v[6:7]
	v_fma_f64 v[2:3], v[14:15], 2.0, -v[4:5]
	v_add_f64 v[4:5], v[16:17], v[4:5]
	v_add_f64 v[6:7], v[18:19], -v[6:7]
	v_fma_f64 v[36:37], v[36:37], 2.0, -v[20:21]
	v_fma_f64 v[38:39], v[38:39], 2.0, -v[22:23]
	v_add_f64 v[0:1], v[8:9], -v[0:1]
	v_add_f64 v[2:3], v[10:11], -v[2:3]
	v_fma_f64 v[12:13], v[16:17], 2.0, -v[4:5]
	v_fma_f64 v[14:15], v[18:19], 2.0, -v[6:7]
	v_add_f64 v[16:17], v[204:205], -v[28:29]
	v_add_f64 v[18:19], v[206:207], -v[30:31]
	;; [unrolled: 1-line block ×4, first 2 shown]
	v_fma_f64 v[8:9], v[8:9], 2.0, -v[0:1]
	v_fma_f64 v[10:11], v[10:11], 2.0, -v[2:3]
	s_waitcnt vmcnt(0)
	ds_store_b128 v48, v[8:11]
	ds_store_b128 v48, v[12:15] offset:208
	ds_store_b128 v48, v[0:3] offset:416
	;; [unrolled: 1-line block ×3, first 2 shown]
	scratch_load_b32 v0, off, off offset:224 ; 4-byte Folded Reload
	v_add_f64 v[10:11], v[24:25], -v[32:33]
	v_add_f64 v[8:9], v[26:27], -v[34:35]
	v_fma_f64 v[32:33], v[204:205], 2.0, -v[16:17]
	v_fma_f64 v[34:35], v[206:207], 2.0, -v[18:19]
	v_add_f64 v[64:65], v[28:29], v[22:23]
	v_add_f64 v[66:67], v[30:31], -v[20:21]
	v_fma_f64 v[12:13], v[24:25], 2.0, -v[10:11]
	v_fma_f64 v[14:15], v[26:27], 2.0, -v[8:9]
	v_fma_f64 v[24:25], v[200:201], 2.0, -v[28:29]
	v_fma_f64 v[26:27], v[202:203], 2.0, -v[30:31]
	v_add_f64 v[8:9], v[16:17], v[8:9]
	v_add_f64 v[10:11], v[18:19], -v[10:11]
	v_fma_f64 v[56:57], v[28:29], 2.0, -v[64:65]
	v_fma_f64 v[58:59], v[30:31], 2.0, -v[66:67]
	v_add_f64 v[12:13], v[32:33], -v[12:13]
	v_add_f64 v[14:15], v[34:35], -v[14:15]
	;; [unrolled: 1-line block ×4, first 2 shown]
	v_fma_f64 v[16:17], v[16:17], 2.0, -v[8:9]
	v_fma_f64 v[18:19], v[18:19], 2.0, -v[10:11]
	;; [unrolled: 1-line block ×6, first 2 shown]
	s_waitcnt vmcnt(0)
	ds_store_b128 v0, v[20:23]
	ds_store_b128 v0, v[16:19] offset:208
	ds_store_b128 v0, v[12:15] offset:416
	;; [unrolled: 1-line block ×3, first 2 shown]
	s_and_saveexec_b32 s1, vcc_lo
	s_cbranch_execz .LBB0_13
; %bb.12:
	s_clause 0x1
	scratch_load_b32 v0, off, off offset:456
	scratch_load_b32 v1, off, off offset:220
	s_waitcnt vmcnt(0)
	v_mad_u16 v0, v0, 52, v1
	s_delay_alu instid0(VALU_DEP_1) | instskip(NEXT) | instid1(VALU_DEP_1)
	v_and_b32_e32 v0, 0xffff, v0
	v_lshlrev_b32_e32 v0, 4, v0
	ds_store_b128 v0, v[52:55]
	ds_store_b128 v0, v[56:59] offset:208
	ds_store_b128 v0, v[60:63] offset:416
	;; [unrolled: 1-line block ×3, first 2 shown]
.LBB0_13:
	s_or_b32 exec_lo, exec_lo, s1
	s_waitcnt lgkmcnt(0)
	s_barrier
	buffer_gl0_inv
	ds_load_b128 v[72:75], v252
	ds_load_b128 v[68:71], v252 offset:2496
	ds_load_b128 v[96:99], v252 offset:10816
	;; [unrolled: 1-line block ×11, first 2 shown]
	s_mov_b32 s1, exec_lo
	scratch_load_b32 v200, off, off offset:216 ; 4-byte Folded Reload
	s_and_b32 s8, s1, s0
	s_delay_alu instid0(SALU_CYCLE_1)
	s_mov_b32 exec_lo, s8
	s_cbranch_execz .LBB0_15
; %bb.14:
	ds_load_b128 v[52:55], v252 offset:9984
	ds_load_b128 v[56:59], v252 offset:20800
	;; [unrolled: 1-line block ×3, first 2 shown]
.LBB0_15:
	s_or_b32 exec_lo, exec_lo, s1
	s_waitcnt lgkmcnt(9)
	v_mul_f64 v[0:1], v[146:147], v[98:99]
	s_waitcnt lgkmcnt(7)
	v_mul_f64 v[2:3], v[150:151], v[194:195]
	s_waitcnt vmcnt(0) lgkmcnt(0)
	s_barrier
	buffer_gl0_inv
	v_mul_f64 v[4:5], v[146:147], v[96:97]
	v_mul_f64 v[6:7], v[150:151], v[192:193]
	;; [unrolled: 1-line block ×12, first 2 shown]
	s_mov_b32 s8, 0xe8584caa
	s_mov_b32 s9, 0xbfebb67a
	;; [unrolled: 1-line block ×4, first 2 shown]
	v_mul_f64 v[26:27], v[142:143], v[94:95]
	v_mul_f64 v[30:31], v[142:143], v[92:93]
	v_fma_f64 v[0:1], v[144:145], v[96:97], v[0:1]
	v_fma_f64 v[2:3], v[148:149], v[192:193], v[2:3]
	v_fma_f64 v[4:5], v[144:145], v[98:99], -v[4:5]
	v_fma_f64 v[6:7], v[148:149], v[194:195], -v[6:7]
	v_fma_f64 v[8:9], v[108:109], v[80:81], v[8:9]
	v_fma_f64 v[10:11], v[112:113], v[88:89], v[10:11]
	v_fma_f64 v[16:17], v[124:125], v[132:133], v[16:17]
	v_fma_f64 v[18:19], v[128:129], v[196:197], v[18:19]
	v_fma_f64 v[12:13], v[108:109], v[82:83], -v[12:13]
	v_fma_f64 v[14:15], v[112:113], v[90:91], -v[14:15]
	;; [unrolled: 1-line block ×3, first 2 shown]
	v_fma_f64 v[24:25], v[136:137], v[84:85], v[24:25]
	v_fma_f64 v[22:23], v[128:129], v[198:199], -v[22:23]
	v_fma_f64 v[28:29], v[136:137], v[86:87], -v[28:29]
	v_fma_f64 v[26:27], v[140:141], v[92:93], v[26:27]
	v_fma_f64 v[30:31], v[140:141], v[94:95], -v[30:31]
	v_add_f64 v[48:49], v[72:73], v[0:1]
	v_add_f64 v[32:33], v[0:1], v[2:3]
	;; [unrolled: 1-line block ×3, first 2 shown]
	v_add_f64 v[50:51], v[4:5], -v[6:7]
	v_add_f64 v[4:5], v[74:75], v[4:5]
	v_add_f64 v[36:37], v[8:9], v[10:11]
	;; [unrolled: 1-line block ×13, first 2 shown]
	v_fma_f64 v[32:33], v[32:33], -0.5, v[72:73]
	v_add_f64 v[72:73], v[0:1], -v[2:3]
	v_add_f64 v[0:1], v[48:49], v[2:3]
	scratch_load_b32 v48, off, off offset:380 ; 4-byte Folded Reload
	v_fma_f64 v[34:35], v[34:35], -0.5, v[74:75]
	v_add_f64 v[74:75], v[12:13], -v[14:15]
	v_add_f64 v[2:3], v[4:5], v[6:7]
	v_fma_f64 v[36:37], v[36:37], -0.5, v[68:69]
	v_add_f64 v[68:69], v[8:9], -v[10:11]
	v_fma_f64 v[40:41], v[40:41], -0.5, v[76:77]
	v_add_f64 v[76:77], v[16:17], -v[18:19]
	v_add_f64 v[8:9], v[84:85], v[18:19]
	v_fma_f64 v[38:39], v[38:39], -0.5, v[70:71]
	v_add_f64 v[70:71], v[20:21], -v[22:23]
	v_add_f64 v[4:5], v[80:81], v[10:11]
	v_add_f64 v[10:11], v[86:87], v[22:23]
	;; [unrolled: 1-line block ×4, first 2 shown]
	v_fma_f64 v[42:43], v[42:43], -0.5, v[78:79]
	v_fma_f64 v[44:45], v[44:45], -0.5, v[64:65]
	v_add_f64 v[64:65], v[24:25], -v[26:27]
	v_add_f64 v[78:79], v[28:29], -v[30:31]
	v_add_f64 v[14:15], v[90:91], v[30:31]
	v_fma_f64 v[46:47], v[46:47], -0.5, v[66:67]
	v_fma_f64 v[16:17], v[50:51], s[8:9], v[32:33]
	v_fma_f64 v[20:21], v[50:51], s[10:11], v[32:33]
	;; [unrolled: 1-line block ×4, first 2 shown]
	s_waitcnt vmcnt(0)
	ds_store_b128 v48, v[0:3]
	ds_store_b128 v48, v[16:19] offset:832
	ds_store_b128 v48, v[20:23] offset:1664
	scratch_load_b32 v0, off, off offset:376 ; 4-byte Folded Reload
	v_fma_f64 v[24:25], v[74:75], s[8:9], v[36:37]
	v_fma_f64 v[26:27], v[68:69], s[10:11], v[38:39]
	;; [unrolled: 1-line block ×12, first 2 shown]
	s_waitcnt vmcnt(0)
	ds_store_b128 v0, v[4:7]
	ds_store_b128 v0, v[24:27] offset:832
	ds_store_b128 v0, v[28:31] offset:1664
	scratch_load_b32 v0, off, off offset:368 ; 4-byte Folded Reload
	s_waitcnt vmcnt(0)
	ds_store_b128 v0, v[8:11]
	ds_store_b128 v0, v[32:35] offset:832
	ds_store_b128 v0, v[36:39] offset:1664
	scratch_load_b32 v0, off, off offset:372 ; 4-byte Folded Reload
	s_waitcnt vmcnt(0)
	ds_store_b128 v0, v[12:15]
	ds_store_b128 v0, v[40:43] offset:832
	ds_store_b128 v0, v[44:47] offset:1664
	s_and_saveexec_b32 s1, s0
	s_cbranch_execz .LBB0_17
; %bb.16:
	s_clause 0x1
	scratch_load_b128 v[8:11], off, off offset:460
	scratch_load_b128 v[12:15], off, off offset:476
	s_waitcnt vmcnt(1)
	v_mul_f64 v[0:1], v[10:11], v[56:57]
	s_waitcnt vmcnt(0)
	v_mul_f64 v[2:3], v[14:15], v[60:61]
	v_mul_f64 v[4:5], v[10:11], v[58:59]
	;; [unrolled: 1-line block ×3, first 2 shown]
	s_delay_alu instid0(VALU_DEP_4) | instskip(NEXT) | instid1(VALU_DEP_4)
	v_fma_f64 v[0:1], v[8:9], v[58:59], -v[0:1]
	v_fma_f64 v[2:3], v[12:13], v[62:63], -v[2:3]
	s_delay_alu instid0(VALU_DEP_4) | instskip(NEXT) | instid1(VALU_DEP_4)
	v_fma_f64 v[4:5], v[8:9], v[56:57], v[4:5]
	v_fma_f64 v[6:7], v[12:13], v[60:61], v[6:7]
	s_delay_alu instid0(VALU_DEP_4) | instskip(NEXT) | instid1(VALU_DEP_4)
	v_add_f64 v[14:15], v[54:55], v[0:1]
	v_add_f64 v[8:9], v[2:3], v[0:1]
	v_add_f64 v[16:17], v[0:1], -v[2:3]
	s_delay_alu instid0(VALU_DEP_4)
	v_add_f64 v[10:11], v[6:7], v[4:5]
	v_add_f64 v[12:13], v[4:5], -v[6:7]
	v_add_f64 v[4:5], v[52:53], v[4:5]
	v_add_f64 v[2:3], v[2:3], v[14:15]
	v_fma_f64 v[8:9], v[8:9], -0.5, v[54:55]
	v_fma_f64 v[18:19], v[10:11], -0.5, v[52:53]
	s_delay_alu instid0(VALU_DEP_4) | instskip(NEXT) | instid1(VALU_DEP_3)
	v_add_f64 v[0:1], v[6:7], v[4:5]
	v_fma_f64 v[6:7], v[12:13], s[8:9], v[8:9]
	v_fma_f64 v[10:11], v[12:13], s[10:11], v[8:9]
	scratch_load_b32 v12, off, off offset:364 ; 4-byte Folded Reload
	v_fma_f64 v[8:9], v[16:17], s[8:9], v[18:19]
	v_fma_f64 v[4:5], v[16:17], s[10:11], v[18:19]
	s_waitcnt vmcnt(0)
	v_lshlrev_b32_e32 v12, 4, v12
	ds_store_b128 v12, v[0:3] offset:29952
	ds_store_b128 v12, v[8:11] offset:30784
	;; [unrolled: 1-line block ×3, first 2 shown]
.LBB0_17:
	s_or_b32 exec_lo, exec_lo, s1
	s_waitcnt lgkmcnt(0)
	s_barrier
	buffer_gl0_inv
	ds_load_b128 v[0:3], v252 offset:2496
	ds_load_b128 v[6:9], v252 offset:29952
	;; [unrolled: 1-line block ×4, first 2 shown]
	ds_load_b128 v[52:55], v252
	ds_load_b128 v[18:21], v252 offset:7488
	ds_load_b128 v[22:25], v252 offset:24960
	;; [unrolled: 1-line block ×8, first 2 shown]
	s_mov_b32 s10, 0x4267c47c
	s_mov_b32 s12, 0xe00740e9
	;; [unrolled: 1-line block ×13, first 2 shown]
	s_waitcnt lgkmcnt(12)
	v_mul_f64 v[4:5], v[154:155], v[2:3]
	v_mul_f64 v[50:51], v[154:155], v[0:1]
	s_waitcnt lgkmcnt(11)
	v_mul_f64 v[56:57], v[190:191], v[6:7]
	s_waitcnt lgkmcnt(10)
	v_mul_f64 v[58:59], v[118:119], v[10:11]
	v_mul_f64 v[62:63], v[118:119], v[12:13]
	s_waitcnt lgkmcnt(6)
	v_mul_f64 v[66:67], v[182:183], v[22:23]
	v_mul_f64 v[70:71], v[190:191], v[8:9]
	;; [unrolled: 1-line block ×3, first 2 shown]
	s_waitcnt lgkmcnt(5)
	v_mul_f64 v[76:77], v[174:175], v[26:27]
	v_mul_f64 v[78:79], v[182:183], v[24:25]
	s_waitcnt lgkmcnt(2)
	v_mul_f64 v[80:81], v[178:179], v[40:41]
	v_mul_f64 v[60:61], v[186:187], v[14:15]
	;; [unrolled: 1-line block ×8, first 2 shown]
	s_waitcnt lgkmcnt(1)
	v_mul_f64 v[86:87], v[158:159], v[42:43]
	s_waitcnt lgkmcnt(0)
	v_mul_f64 v[90:91], v[170:171], v[46:47]
	s_mov_b32 s15, 0x3fe22d96
	s_mov_b32 s21, 0x3fbedb7d
	;; [unrolled: 1-line block ×7, first 2 shown]
	v_mul_f64 v[88:89], v[170:171], v[48:49]
	s_mov_b32 s18, 0x66966769
	s_mov_b32 s40, 0x4bc48dbf
	;; [unrolled: 1-line block ×10, first 2 shown]
	v_fma_f64 v[84:85], v[152:153], v[0:1], v[4:5]
	v_fma_f64 v[50:51], v[152:153], v[2:3], -v[50:51]
	v_fma_f64 v[0:1], v[188:189], v[8:9], -v[56:57]
	;; [unrolled: 1-line block ×3, first 2 shown]
	v_mul_f64 v[58:59], v[162:163], v[30:31]
	v_fma_f64 v[8:9], v[180:181], v[24:25], -v[66:67]
	v_fma_f64 v[24:25], v[116:117], v[10:11], v[62:63]
	v_fma_f64 v[2:3], v[188:189], v[6:7], v[70:71]
	;; [unrolled: 1-line block ×4, first 2 shown]
	v_fma_f64 v[22:23], v[172:173], v[28:29], -v[76:77]
	v_fma_f64 v[14:15], v[176:177], v[38:39], v[80:81]
	v_fma_f64 v[4:5], v[184:185], v[16:17], -v[60:61]
	v_mul_f64 v[16:17], v[162:163], v[32:33]
	v_fma_f64 v[20:21], v[120:121], v[20:21], -v[64:65]
	v_fma_f64 v[62:63], v[120:121], v[18:19], v[68:69]
	v_fma_f64 v[18:19], v[164:165], v[34:35], v[92:93]
	v_mul_f64 v[60:61], v[158:159], v[44:45]
	v_fma_f64 v[26:27], v[172:173], v[26:27], v[72:73]
	v_fma_f64 v[12:13], v[176:177], v[40:41], -v[82:83]
	v_fma_f64 v[44:45], v[156:157], v[44:45], -v[86:87]
	v_fma_f64 v[48:49], v[168:169], v[48:49], -v[90:91]
	s_mov_b32 s16, s8
	s_mov_b32 s22, s18
	;; [unrolled: 1-line block ×5, first 2 shown]
	v_fma_f64 v[46:47], v[168:169], v[46:47], v[88:89]
	v_add_f64 v[28:29], v[52:53], v[84:85]
	v_add_f64 v[38:39], v[54:55], v[50:51]
	v_add_f64 v[40:41], v[50:51], -v[0:1]
	v_add_f64 v[50:51], v[50:51], v[0:1]
	v_fma_f64 v[32:33], v[160:161], v[32:33], -v[58:59]
	v_add_f64 v[58:59], v[84:85], v[2:3]
	v_add_f64 v[68:69], v[24:25], v[6:7]
	v_add_f64 v[70:71], v[24:25], -v[6:7]
	v_add_f64 v[64:65], v[56:57], -v[4:5]
	v_fma_f64 v[30:31], v[160:161], v[30:31], v[16:17]
	v_fma_f64 v[16:17], v[164:165], v[36:37], -v[94:95]
	v_add_f64 v[34:35], v[20:21], -v[8:9]
	v_add_f64 v[36:37], v[20:21], v[8:9]
	v_add_f64 v[66:67], v[56:57], v[4:5]
	v_fma_f64 v[42:43], v[156:157], v[42:43], v[60:61]
	v_add_f64 v[60:61], v[84:85], -v[2:3]
	v_add_f64 v[72:73], v[62:63], v[10:11]
	v_add_f64 v[74:75], v[62:63], -v[10:11]
	v_add_f64 v[78:79], v[22:23], v[12:13]
	;; [unrolled: 2-line block ×4, first 2 shown]
	v_add_f64 v[28:29], v[38:39], v[56:57]
	v_mul_f64 v[38:39], v[40:41], s[10:11]
	v_mul_f64 v[56:57], v[50:51], s[12:13]
	;; [unrolled: 1-line block ×36, first 2 shown]
	v_add_f64 v[24:25], v[24:25], v[62:63]
	v_add_f64 v[20:21], v[28:29], v[20:21]
	v_fma_f64 v[28:29], v[58:59], s[12:13], v[38:39]
	v_fma_f64 v[62:63], v[60:61], s[0:1], v[56:57]
	v_fma_f64 v[38:39], v[58:59], s[12:13], -v[38:39]
	v_fma_f64 v[56:57], v[60:61], s[10:11], v[56:57]
	v_fma_f64 v[160:161], v[58:59], s[14:15], v[84:85]
	;; [unrolled: 1-line block ×3, first 2 shown]
	v_fma_f64 v[84:85], v[58:59], s[14:15], -v[84:85]
	v_fma_f64 v[86:87], v[60:61], s[8:9], v[86:87]
	v_fma_f64 v[166:167], v[60:61], s[22:23], v[90:91]
	;; [unrolled: 1-line block ×5, first 2 shown]
	v_fma_f64 v[92:93], v[58:59], s[28:29], -v[92:93]
	v_fma_f64 v[94:95], v[60:61], s[26:27], v[94:95]
	v_fma_f64 v[172:173], v[58:59], s[36:37], v[96:97]
	v_fma_f64 v[174:175], v[60:61], s[38:39], v[98:99]
	v_fma_f64 v[178:179], v[60:61], s[34:35], v[50:51]
	v_mul_f64 v[140:141], v[82:83], s[26:27]
	v_mul_f64 v[142:143], v[78:79], s[28:29]
	v_fma_f64 v[164:165], v[58:59], s[20:21], v[88:89]
	v_fma_f64 v[88:89], v[58:59], s[20:21], -v[88:89]
	v_fma_f64 v[96:97], v[58:59], s[36:37], -v[96:97]
	v_fma_f64 v[98:99], v[60:61], s[24:25], v[98:99]
	v_fma_f64 v[176:177], v[58:59], s[42:43], v[40:41]
	v_fma_f64 v[40:41], v[58:59], s[42:43], -v[40:41]
	v_fma_f64 v[50:51], v[60:61], s[40:41], v[50:51]
	v_fma_f64 v[58:59], v[68:69], s[14:15], v[100:101]
	v_fma_f64 v[60:61], v[70:71], s[16:17], v[102:103]
	v_fma_f64 v[100:101], v[68:69], s[14:15], -v[100:101]
	v_fma_f64 v[102:103], v[70:71], s[8:9], v[102:103]
	;; [unrolled: 4-line block ×3, first 2 shown]
	v_fma_f64 v[186:187], v[70:71], s[34:35], v[110:111]
	v_fma_f64 v[110:111], v[70:71], s[40:41], v[110:111]
	v_add_f64 v[24:25], v[24:25], v[26:27]
	v_add_f64 v[20:21], v[20:21], v[22:23]
	v_fma_f64 v[188:189], v[68:69], s[36:37], v[112:113]
	v_fma_f64 v[190:191], v[70:71], s[24:25], v[114:115]
	v_fma_f64 v[112:113], v[68:69], s[36:37], -v[112:113]
	v_fma_f64 v[22:23], v[70:71], s[38:39], v[114:115]
	v_fma_f64 v[26:27], v[68:69], s[20:21], v[116:117]
	;; [unrolled: 1-line block ×3, first 2 shown]
	v_add_f64 v[28:29], v[52:53], v[28:29]
	v_add_f64 v[62:63], v[54:55], v[62:63]
	v_fma_f64 v[194:195], v[70:71], s[10:11], v[66:67]
	v_add_f64 v[38:39], v[52:53], v[38:39]
	v_add_f64 v[56:57], v[54:55], v[56:57]
	;; [unrolled: 1-line block ×12, first 2 shown]
	v_mul_f64 v[144:145], v[82:83], s[38:39]
	v_mul_f64 v[146:147], v[78:79], s[36:37]
	;; [unrolled: 1-line block ×10, first 2 shown]
	v_fma_f64 v[184:185], v[68:69], s[42:43], v[108:109]
	v_fma_f64 v[108:109], v[68:69], s[42:43], -v[108:109]
	v_fma_f64 v[116:117], v[68:69], s[20:21], -v[116:117]
	v_fma_f64 v[118:119], v[70:71], s[22:23], v[118:119]
	v_fma_f64 v[192:193], v[68:69], s[12:13], v[64:65]
	v_add_f64 v[24:25], v[24:25], v[30:31]
	v_add_f64 v[20:21], v[20:21], v[32:33]
	v_fma_f64 v[64:65], v[68:69], s[12:13], -v[64:65]
	v_fma_f64 v[66:67], v[70:71], s[0:1], v[66:67]
	v_fma_f64 v[68:69], v[72:73], s[20:21], v[120:121]
	;; [unrolled: 1-line block ×3, first 2 shown]
	v_fma_f64 v[120:121], v[72:73], s[20:21], -v[120:121]
	v_fma_f64 v[122:123], v[74:75], s[18:19], v[122:123]
	v_add_f64 v[164:165], v[52:53], v[164:165]
	v_add_f64 v[166:167], v[54:55], v[166:167]
	;; [unrolled: 1-line block ×10, first 2 shown]
	v_fma_f64 v[52:53], v[72:73], s[42:43], v[124:125]
	v_fma_f64 v[54:55], v[74:75], s[34:35], v[126:127]
	v_fma_f64 v[124:125], v[72:73], s[42:43], -v[124:125]
	v_fma_f64 v[126:127], v[74:75], s[40:41], v[126:127]
	v_add_f64 v[28:29], v[58:59], v[28:29]
	v_fma_f64 v[58:59], v[72:73], s[28:29], v[128:129]
	v_add_f64 v[60:61], v[60:61], v[62:63]
	v_fma_f64 v[62:63], v[74:75], s[26:27], v[130:131]
	v_fma_f64 v[128:129], v[72:73], s[28:29], -v[128:129]
	v_fma_f64 v[130:131], v[74:75], s[30:31], v[130:131]
	v_add_f64 v[38:39], v[100:101], v[38:39]
	v_fma_f64 v[100:101], v[72:73], s[12:13], v[132:133]
	v_add_f64 v[56:57], v[102:103], v[56:57]
	;; [unrolled: 6-line block ×3, first 2 shown]
	v_fma_f64 v[182:183], v[74:75], s[16:17], v[138:139]
	v_add_f64 v[24:25], v[24:25], v[42:43]
	v_add_f64 v[20:21], v[20:21], v[44:45]
	v_fma_f64 v[136:137], v[72:73], s[14:15], -v[136:137]
	v_fma_f64 v[138:139], v[74:75], s[8:9], v[138:139]
	v_add_f64 v[84:85], v[104:105], v[84:85]
	v_fma_f64 v[104:105], v[72:73], s[36:37], v[34:35]
	v_add_f64 v[86:87], v[106:107], v[86:87]
	v_add_f64 v[90:91], v[110:111], v[90:91]
	;; [unrolled: 1-line block ×6, first 2 shown]
	v_fma_f64 v[112:113], v[74:75], s[38:39], v[36:37]
	v_fma_f64 v[34:35], v[72:73], s[36:37], -v[34:35]
	v_fma_f64 v[36:37], v[74:75], s[24:25], v[36:37]
	v_fma_f64 v[72:73], v[76:77], s[28:29], v[140:141]
	;; [unrolled: 1-line block ×3, first 2 shown]
	v_fma_f64 v[114:115], v[76:77], s[28:29], -v[140:141]
	v_fma_f64 v[140:141], v[80:81], s[26:27], v[142:143]
	v_add_f64 v[142:143], v[32:33], -v[16:17]
	v_add_f64 v[32:33], v[32:33], v[16:17]
	v_add_f64 v[178:179], v[194:195], v[178:179]
	;; [unrolled: 1-line block ×7, first 2 shown]
	v_fma_f64 v[166:167], v[76:77], s[36:37], v[144:145]
	v_fma_f64 v[168:169], v[80:81], s[24:25], v[146:147]
	v_fma_f64 v[144:145], v[76:77], s[36:37], -v[144:145]
	v_fma_f64 v[146:147], v[80:81], s[38:39], v[146:147]
	v_fma_f64 v[170:171], v[76:77], s[12:13], v[148:149]
	v_fma_f64 v[172:173], v[80:81], s[10:11], v[150:151]
	v_fma_f64 v[148:149], v[76:77], s[12:13], -v[148:149]
	v_fma_f64 v[150:151], v[80:81], s[0:1], v[150:151]
	v_fma_f64 v[174:175], v[76:77], s[20:21], v[152:153]
	;; [unrolled: 1-line block ×3, first 2 shown]
	v_fma_f64 v[152:153], v[76:77], s[20:21], -v[152:153]
	v_add_f64 v[24:25], v[24:25], v[46:47]
	v_add_f64 v[20:21], v[20:21], v[48:49]
	v_fma_f64 v[154:155], v[80:81], s[18:19], v[154:155]
	v_fma_f64 v[186:187], v[76:77], s[42:43], v[156:157]
	;; [unrolled: 1-line block ×3, first 2 shown]
	v_fma_f64 v[156:157], v[76:77], s[42:43], -v[156:157]
	v_fma_f64 v[158:159], v[80:81], s[34:35], v[158:159]
	v_fma_f64 v[190:191], v[76:77], s[14:15], v[82:83]
	v_fma_f64 v[76:77], v[76:77], s[14:15], -v[82:83]
	v_fma_f64 v[82:83], v[80:81], s[8:9], v[78:79]
	v_fma_f64 v[78:79], v[80:81], s[16:17], v[78:79]
	v_add_f64 v[80:81], v[44:45], -v[48:49]
	v_add_f64 v[44:45], v[44:45], v[48:49]
	v_add_f64 v[96:97], v[116:117], v[96:97]
	;; [unrolled: 1-line block ×3, first 2 shown]
	v_add_f64 v[30:31], v[30:31], -v[18:19]
	v_add_f64 v[98:99], v[118:119], v[98:99]
	v_add_f64 v[118:119], v[42:43], v[46:47]
	v_add_f64 v[42:43], v[42:43], -v[46:47]
	v_mul_f64 v[46:47], v[142:143], s[24:25]
	v_mul_f64 v[48:49], v[32:33], s[36:37]
	v_add_f64 v[176:177], v[192:193], v[176:177]
	v_mul_f64 v[192:193], v[142:143], s[22:23]
	v_mul_f64 v[194:195], v[32:33], s[20:21]
	v_add_f64 v[40:41], v[64:65], v[40:41]
	v_add_f64 v[50:51], v[66:67], v[50:51]
	v_mul_f64 v[66:67], v[32:33], s[14:15]
	v_add_f64 v[28:29], v[68:69], v[28:29]
	v_add_f64 v[38:39], v[120:121], v[38:39]
	v_mul_f64 v[120:121], v[32:33], s[42:43]
	v_add_f64 v[56:57], v[122:123], v[56:57]
	v_mul_f64 v[122:123], v[142:143], s[0:1]
	;; [unrolled: 2-line block ×3, first 2 shown]
	v_mul_f64 v[32:33], v[32:33], s[28:29]
	v_add_f64 v[54:55], v[54:55], v[162:163]
	v_add_f64 v[86:87], v[126:127], v[86:87]
	;; [unrolled: 1-line block ×7, first 2 shown]
	v_mul_f64 v[68:69], v[142:143], s[34:35]
	v_add_f64 v[62:63], v[62:63], v[164:165]
	v_add_f64 v[88:89], v[128:129], v[88:89]
	;; [unrolled: 1-line block ×6, first 2 shown]
	v_mul_f64 v[24:25], v[80:81], s[26:27]
	v_mul_f64 v[128:129], v[44:45], s[36:37]
	;; [unrolled: 1-line block ×3, first 2 shown]
	v_add_f64 v[96:97], v[136:137], v[96:97]
	v_add_f64 v[84:85], v[124:125], v[84:85]
	;; [unrolled: 1-line block ×3, first 2 shown]
	v_mul_f64 v[130:131], v[80:81], s[16:17]
	v_mul_f64 v[20:21], v[44:45], s[28:29]
	v_fma_f64 v[110:111], v[116:117], s[36:37], v[46:47]
	v_fma_f64 v[132:133], v[30:31], s[38:39], v[48:49]
	;; [unrolled: 1-line block ×6, first 2 shown]
	v_add_f64 v[104:105], v[104:105], v[176:177]
	v_fma_f64 v[136:137], v[30:31], s[16:17], v[66:67]
	v_fma_f64 v[66:67], v[30:31], s[8:9], v[66:67]
	v_add_f64 v[34:35], v[34:35], v[40:41]
	v_fma_f64 v[176:177], v[30:31], s[40:41], v[120:121]
	v_fma_f64 v[120:121], v[30:31], s[34:35], v[120:121]
	;; [unrolled: 1-line block ×3, first 2 shown]
	v_add_f64 v[36:37], v[36:37], v[50:51]
	v_fma_f64 v[40:41], v[30:31], s[10:11], v[160:161]
	v_fma_f64 v[160:161], v[30:31], s[0:1], v[160:161]
	v_add_f64 v[28:29], v[72:73], v[28:29]
	v_add_f64 v[52:53], v[166:167], v[52:53]
	v_add_f64 v[54:55], v[168:169], v[54:55]
	v_add_f64 v[14:15], v[18:19], v[14:15]
	v_add_f64 v[12:13], v[16:17], v[12:13]
	v_fma_f64 v[18:19], v[30:31], s[30:31], v[32:33]
	v_fma_f64 v[16:17], v[30:31], s[26:27], v[32:33]
	v_add_f64 v[30:31], v[70:71], v[60:61]
	v_add_f64 v[86:87], v[146:147], v[86:87]
	;; [unrolled: 1-line block ×5, first 2 shown]
	v_fma_f64 v[46:47], v[116:117], s[36:37], -v[46:47]
	v_fma_f64 v[138:139], v[116:117], s[42:43], v[68:69]
	v_fma_f64 v[68:69], v[116:117], s[42:43], -v[68:69]
	v_add_f64 v[38:39], v[114:115], v[38:39]
	v_add_f64 v[62:63], v[172:173], v[62:63]
	;; [unrolled: 1-line block ×4, first 2 shown]
	v_mul_f64 v[64:65], v[142:143], s[8:9]
	v_fma_f64 v[112:113], v[118:119], s[14:15], -v[130:131]
	v_fma_f64 v[144:145], v[42:43], s[26:27], v[20:21]
	v_add_f64 v[58:59], v[58:59], v[106:107]
	v_add_f64 v[94:95], v[182:183], v[94:95]
	v_mul_f64 v[142:143], v[142:143], s[26:27]
	v_mul_f64 v[162:163], v[80:81], s[40:41]
	;; [unrolled: 1-line block ×7, first 2 shown]
	v_add_f64 v[34:35], v[76:77], v[34:35]
	v_add_f64 v[76:77], v[158:159], v[98:99]
	v_fma_f64 v[98:99], v[42:43], s[8:9], v[108:109]
	v_mul_f64 v[44:45], v[44:45], s[20:21]
	v_add_f64 v[36:37], v[78:79], v[36:37]
	v_fma_f64 v[78:79], v[118:119], s[14:15], v[130:131]
	v_fma_f64 v[130:131], v[42:43], s[30:31], v[20:21]
	v_add_f64 v[56:57], v[140:141], v[56:57]
	v_add_f64 v[100:101], v[174:175], v[100:101]
	;; [unrolled: 1-line block ×8, first 2 shown]
	v_fma_f64 v[74:75], v[42:43], s[16:17], v[108:109]
	v_fma_f64 v[108:109], v[118:119], s[28:29], v[24:25]
	v_add_f64 v[30:31], v[180:181], v[54:55]
	v_add_f64 v[52:53], v[194:195], v[86:87]
	;; [unrolled: 1-line block ×5, first 2 shown]
	v_fma_f64 v[82:83], v[42:43], s[24:25], v[128:129]
	v_add_f64 v[20:21], v[46:47], v[38:39]
	v_add_f64 v[46:47], v[136:137], v[62:63]
	v_add_f64 v[62:63], v[68:69], v[92:93]
	v_fma_f64 v[182:183], v[116:117], s[14:15], v[64:65]
	v_fma_f64 v[192:193], v[116:117], s[20:21], -v[192:193]
	v_add_f64 v[104:105], v[190:191], v[104:105]
	v_add_f64 v[58:59], v[170:171], v[58:59]
	;; [unrolled: 1-line block ×3, first 2 shown]
	v_fma_f64 v[50:51], v[116:117], s[28:29], v[142:143]
	v_fma_f64 v[64:65], v[116:117], s[14:15], -v[64:65]
	v_fma_f64 v[122:123], v[116:117], s[12:13], -v[122:123]
	v_fma_f64 v[116:117], v[116:117], s[28:29], -v[142:143]
	v_add_f64 v[88:89], v[148:149], v[88:89]
	v_add_f64 v[96:97], v[156:157], v[96:97]
	v_add_f64 v[22:23], v[154:155], v[22:23]
	v_fma_f64 v[32:33], v[118:119], s[42:43], v[162:163]
	v_fma_f64 v[60:61], v[118:119], s[42:43], -v[162:163]
	v_fma_f64 v[142:143], v[118:119], s[12:13], v[126:127]
	v_fma_f64 v[162:163], v[42:43], s[10:11], v[106:107]
	v_add_f64 v[68:69], v[16:17], v[36:37]
	v_fma_f64 v[126:127], v[118:119], s[12:13], -v[126:127]
	v_fma_f64 v[72:73], v[118:119], s[36:37], v[164:165]
	v_fma_f64 v[114:115], v[42:43], s[38:39], v[128:129]
	v_fma_f64 v[164:165], v[118:119], s[36:37], -v[164:165]
	v_fma_f64 v[140:141], v[118:119], s[28:29], -v[24:25]
	v_fma_f64 v[146:147], v[118:119], s[20:21], v[80:81]
	v_add_f64 v[86:87], v[8:9], v[4:5]
	v_fma_f64 v[148:149], v[42:43], s[18:19], v[44:45]
	v_fma_f64 v[80:81], v[118:119], s[20:21], -v[80:81]
	v_fma_f64 v[118:119], v[42:43], s[22:23], v[44:45]
	v_add_f64 v[24:25], v[48:49], v[56:57]
	v_add_f64 v[56:57], v[138:139], v[100:101]
	v_fma_f64 v[70:71], v[42:43], s[40:41], v[124:125]
	v_add_f64 v[76:77], v[160:161], v[76:77]
	v_add_f64 v[6:7], v[10:11], v[6:7]
	;; [unrolled: 1-line block ×6, first 2 shown]
	v_fma_f64 v[84:85], v[42:43], s[0:1], v[106:107]
	v_add_f64 v[44:45], v[182:183], v[58:59]
	v_add_f64 v[58:59], v[176:177], v[102:103]
	;; [unrolled: 1-line block ×4, first 2 shown]
	s_mul_i32 s1, s5, 0x9c0
	v_add_f64 v[34:35], v[116:117], v[34:35]
	v_add_f64 v[48:49], v[64:65], v[88:89]
	v_add_f64 v[66:67], v[122:123], v[96:97]
	v_add_f64 v[64:65], v[120:121], v[22:23]
	v_fma_f64 v[88:89], v[42:43], s[34:35], v[124:125]
	v_add_f64 v[4:5], v[32:33], v[14:15]
	v_add_f64 v[12:13], v[142:143], v[28:29]
	v_add_f64 v[14:15], v[162:163], v[30:31]
	v_add_f64 v[8:9], v[60:61], v[20:21]
	v_add_f64 v[32:33], v[112:113], v[62:63]
	s_mul_i32 s0, s4, 0x9c0
	v_add_f64 v[22:23], v[114:115], v[46:47]
	v_add_f64 v[54:55], v[86:87], v[0:1]
	scratch_load_b64 v[0:1], off, off       ; 8-byte Folded Reload
	v_add_f64 v[46:47], v[148:149], v[18:19]
	v_add_f64 v[28:29], v[78:79], v[56:57]
	;; [unrolled: 1-line block ×10, first 2 shown]
	v_mad_u64_u32 v[58:59], null, s4, v200, 0
	v_add_f64 v[24:25], v[164:165], v[48:49]
	v_add_f64 v[48:49], v[80:81], v[34:35]
	v_add_f64 v[50:51], v[118:119], v[68:69]
	v_add_f64 v[40:41], v[140:141], v[66:67]
	v_add_f64 v[34:35], v[74:75], v[64:65]
	v_add_f64 v[52:53], v[6:7], v[2:3]
	v_add_f64 v[6:7], v[88:89], v[90:91]
	ds_store_b128 v252, v[12:15] offset:4992
	ds_store_b128 v252, v[20:23] offset:7488
	;; [unrolled: 1-line block ×11, first 2 shown]
	ds_store_b128 v252, v[52:55]
	ds_store_b128 v252, v[4:7] offset:2496
	s_waitcnt vmcnt(0) lgkmcnt(0)
	s_barrier
	buffer_gl0_inv
	ds_load_b128 v[8:11], v252 offset:4992
	v_mov_b32_e32 v1, v59
	ds_load_b128 v[4:7], v252 offset:2496
	v_mov_b32_e32 v60, v0
	s_delay_alu instid0(VALU_DEP_1) | instskip(NEXT) | instid1(VALU_DEP_1)
	v_mad_u64_u32 v[56:57], null, s6, v60, 0
	v_mov_b32_e32 v0, v57
	s_delay_alu instid0(VALU_DEP_1) | instskip(NEXT) | instid1(VALU_DEP_1)
	v_mad_u64_u32 v[2:3], null, s7, v60, v[0:1]
	v_mov_b32_e32 v57, v2
	v_mad_u64_u32 v[59:60], null, s5, v200, v[1:2]
	ds_load_b128 v[0:3], v252
	ds_load_b128 v[12:15], v252 offset:7488
	ds_load_b128 v[16:19], v252 offset:9984
	;; [unrolled: 1-line block ×4, first 2 shown]
	v_lshlrev_b64 v[28:29], 4, v[56:57]
	s_mul_hi_u32 s5, s4, 0x9c0
	s_delay_alu instid0(SALU_CYCLE_1) | instskip(SKIP_1) | instid1(VALU_DEP_2)
	s_add_i32 s1, s5, s1
	v_lshlrev_b64 v[52:53], 4, v[58:59]
	v_add_co_u32 v82, vcc_lo, s2, v28
	s_delay_alu instid0(VALU_DEP_3)
	v_add_co_ci_u32_e32 v83, vcc_lo, s3, v29, vcc_lo
	ds_load_b128 v[28:31], v252 offset:17472
	ds_load_b128 v[32:35], v252 offset:19968
	;; [unrolled: 1-line block ×6, first 2 shown]
	scratch_load_b128 v[110:113], off, off offset:8 ; 16-byte Folded Reload
	v_add_co_u32 v52, vcc_lo, v82, v52
	v_add_co_ci_u32_e32 v53, vcc_lo, v83, v53, vcc_lo
	s_mov_b32 s2, 0xfc7729e9
	s_delay_alu instid0(VALU_DEP_2) | instskip(NEXT) | instid1(VALU_DEP_2)
	v_add_co_u32 v106, vcc_lo, v52, s0
	v_add_co_ci_u32_e32 v107, vcc_lo, s1, v53, vcc_lo
	s_mov_b32 s3, 0x3f402864
	s_delay_alu instid0(VALU_DEP_2) | instskip(NEXT) | instid1(VALU_DEP_2)
	v_add_co_u32 v108, vcc_lo, v106, s0
	v_add_co_ci_u32_e32 v109, vcc_lo, s1, v107, vcc_lo
	s_waitcnt vmcnt(0) lgkmcnt(10)
	v_mul_f64 v[54:55], v[112:113], v[2:3]
	v_mul_f64 v[56:57], v[112:113], v[0:1]
	scratch_load_b128 v[112:115], off, off offset:24 ; 16-byte Folded Reload
	v_fma_f64 v[0:1], v[110:111], v[0:1], v[54:55]
	v_fma_f64 v[2:3], v[110:111], v[2:3], -v[56:57]
	v_add_co_u32 v54, vcc_lo, v108, s0
	v_add_co_ci_u32_e32 v55, vcc_lo, s1, v109, vcc_lo
	s_delay_alu instid0(VALU_DEP_2) | instskip(NEXT) | instid1(VALU_DEP_2)
	v_add_co_u32 v56, vcc_lo, v54, s0
	v_add_co_ci_u32_e32 v57, vcc_lo, s1, v55, vcc_lo
	v_mul_f64 v[0:1], v[0:1], s[2:3]
	v_mul_f64 v[2:3], v[2:3], s[2:3]
	s_waitcnt vmcnt(0)
	v_mul_f64 v[58:59], v[114:115], v[6:7]
	v_mul_f64 v[60:61], v[114:115], v[4:5]
	scratch_load_b128 v[114:117], off, off offset:40 ; 16-byte Folded Reload
	v_fma_f64 v[4:5], v[112:113], v[4:5], v[58:59]
	v_fma_f64 v[6:7], v[112:113], v[6:7], -v[60:61]
	v_add_co_u32 v58, vcc_lo, v56, s0
	v_add_co_ci_u32_e32 v59, vcc_lo, s1, v57, vcc_lo
	s_delay_alu instid0(VALU_DEP_2) | instskip(NEXT) | instid1(VALU_DEP_2)
	v_add_co_u32 v60, vcc_lo, v58, s0
	v_add_co_ci_u32_e32 v61, vcc_lo, s1, v59, vcc_lo
	v_mul_f64 v[4:5], v[4:5], s[2:3]
	v_mul_f64 v[6:7], v[6:7], s[2:3]
	s_waitcnt vmcnt(0)
	v_mul_f64 v[62:63], v[116:117], v[10:11]
	v_mul_f64 v[64:65], v[116:117], v[8:9]
	scratch_load_b128 v[116:119], off, off offset:56 ; 16-byte Folded Reload
	v_fma_f64 v[8:9], v[114:115], v[8:9], v[62:63]
	v_fma_f64 v[10:11], v[114:115], v[10:11], -v[64:65]
	v_add_co_u32 v62, vcc_lo, v60, s0
	v_add_co_ci_u32_e32 v63, vcc_lo, s1, v61, vcc_lo
	s_delay_alu instid0(VALU_DEP_2) | instskip(NEXT) | instid1(VALU_DEP_2)
	v_add_co_u32 v64, vcc_lo, v62, s0
	v_add_co_ci_u32_e32 v65, vcc_lo, s1, v63, vcc_lo
	v_mul_f64 v[8:9], v[8:9], s[2:3]
	v_mul_f64 v[10:11], v[10:11], s[2:3]
	s_waitcnt vmcnt(0) lgkmcnt(9)
	v_mul_f64 v[66:67], v[118:119], v[14:15]
	v_mul_f64 v[68:69], v[118:119], v[12:13]
	scratch_load_b128 v[118:121], off, off offset:72 ; 16-byte Folded Reload
	v_fma_f64 v[12:13], v[116:117], v[12:13], v[66:67]
	v_fma_f64 v[14:15], v[116:117], v[14:15], -v[68:69]
	v_add_co_u32 v66, vcc_lo, v64, s0
	v_add_co_ci_u32_e32 v67, vcc_lo, s1, v65, vcc_lo
	s_delay_alu instid0(VALU_DEP_4) | instskip(NEXT) | instid1(VALU_DEP_4)
	v_mul_f64 v[12:13], v[12:13], s[2:3]
	v_mul_f64 v[14:15], v[14:15], s[2:3]
	s_waitcnt vmcnt(0) lgkmcnt(8)
	v_mul_f64 v[70:71], v[120:121], v[18:19]
	v_mul_f64 v[72:73], v[120:121], v[16:17]
	scratch_load_b128 v[120:123], off, off offset:88 ; 16-byte Folded Reload
	v_fma_f64 v[16:17], v[118:119], v[16:17], v[70:71]
	v_fma_f64 v[18:19], v[118:119], v[18:19], -v[72:73]
	s_delay_alu instid0(VALU_DEP_2) | instskip(NEXT) | instid1(VALU_DEP_2)
	v_mul_f64 v[16:17], v[16:17], s[2:3]
	v_mul_f64 v[18:19], v[18:19], s[2:3]
	s_waitcnt vmcnt(0) lgkmcnt(7)
	v_mul_f64 v[74:75], v[122:123], v[22:23]
	v_mul_f64 v[76:77], v[122:123], v[20:21]
	scratch_load_b128 v[122:125], off, off offset:104 ; 16-byte Folded Reload
	v_fma_f64 v[20:21], v[120:121], v[20:21], v[74:75]
	v_fma_f64 v[22:23], v[120:121], v[22:23], -v[76:77]
	s_delay_alu instid0(VALU_DEP_2) | instskip(NEXT) | instid1(VALU_DEP_2)
	;; [unrolled: 9-line block ×7, first 2 shown]
	v_mul_f64 v[40:41], v[40:41], s[2:3]
	v_mul_f64 v[42:43], v[42:43], s[2:3]
	s_waitcnt vmcnt(0) lgkmcnt(1)
	v_mul_f64 v[98:99], v[134:135], v[46:47]
	v_mul_f64 v[100:101], v[134:135], v[44:45]
	scratch_load_b128 v[134:137], off, off offset:200 ; 16-byte Folded Reload
	s_clause 0x4
	global_store_b128 v[52:53], v[0:3], off
	global_store_b128 v[106:107], v[4:7], off
	;; [unrolled: 1-line block ×6, first 2 shown]
	v_add_co_u32 v0, vcc_lo, v66, s0
	v_add_co_ci_u32_e32 v1, vcc_lo, s1, v67, vcc_lo
	global_store_b128 v[60:61], v[24:27], off
	v_add_co_u32 v2, vcc_lo, v0, s0
	v_add_co_ci_u32_e32 v3, vcc_lo, s1, v1, vcc_lo
	global_store_b128 v[62:63], v[28:31], off
	v_add_co_u32 v4, vcc_lo, v2, s0
	v_add_co_ci_u32_e32 v5, vcc_lo, s1, v3, vcc_lo
	v_fma_f64 v[44:45], v[132:133], v[44:45], v[98:99]
	v_fma_f64 v[46:47], v[132:133], v[46:47], -v[100:101]
	s_delay_alu instid0(VALU_DEP_2) | instskip(NEXT) | instid1(VALU_DEP_2)
	v_mul_f64 v[44:45], v[44:45], s[2:3]
	v_mul_f64 v[46:47], v[46:47], s[2:3]
	s_waitcnt vmcnt(0) lgkmcnt(0)
	v_mul_f64 v[102:103], v[136:137], v[50:51]
	v_mul_f64 v[104:105], v[136:137], v[48:49]
	s_delay_alu instid0(VALU_DEP_2) | instskip(NEXT) | instid1(VALU_DEP_2)
	v_fma_f64 v[48:49], v[134:135], v[48:49], v[102:103]
	v_fma_f64 v[50:51], v[134:135], v[50:51], -v[104:105]
	s_delay_alu instid0(VALU_DEP_2) | instskip(NEXT) | instid1(VALU_DEP_2)
	v_mul_f64 v[48:49], v[48:49], s[2:3]
	v_mul_f64 v[50:51], v[50:51], s[2:3]
	global_store_b128 v[64:65], v[32:35], off
	global_store_b128 v[66:67], v[36:39], off
	;; [unrolled: 1-line block ×5, first 2 shown]
.LBB0_18:
	s_nop 0
	s_sendmsg sendmsg(MSG_DEALLOC_VGPRS)
	s_endpgm
	.section	.rodata,"a",@progbits
	.p2align	6, 0x0
	.amdhsa_kernel bluestein_single_fwd_len2028_dim1_dp_op_CI_CI
		.amdhsa_group_segment_fixed_size 32448
		.amdhsa_private_segment_fixed_size 496
		.amdhsa_kernarg_size 104
		.amdhsa_user_sgpr_count 15
		.amdhsa_user_sgpr_dispatch_ptr 0
		.amdhsa_user_sgpr_queue_ptr 0
		.amdhsa_user_sgpr_kernarg_segment_ptr 1
		.amdhsa_user_sgpr_dispatch_id 0
		.amdhsa_user_sgpr_private_segment_size 0
		.amdhsa_wavefront_size32 1
		.amdhsa_uses_dynamic_stack 0
		.amdhsa_enable_private_segment 1
		.amdhsa_system_sgpr_workgroup_id_x 1
		.amdhsa_system_sgpr_workgroup_id_y 0
		.amdhsa_system_sgpr_workgroup_id_z 0
		.amdhsa_system_sgpr_workgroup_info 0
		.amdhsa_system_vgpr_workitem_id 0
		.amdhsa_next_free_vgpr 256
		.amdhsa_next_free_sgpr 46
		.amdhsa_reserve_vcc 1
		.amdhsa_float_round_mode_32 0
		.amdhsa_float_round_mode_16_64 0
		.amdhsa_float_denorm_mode_32 3
		.amdhsa_float_denorm_mode_16_64 3
		.amdhsa_dx10_clamp 1
		.amdhsa_ieee_mode 1
		.amdhsa_fp16_overflow 0
		.amdhsa_workgroup_processor_mode 1
		.amdhsa_memory_ordered 1
		.amdhsa_forward_progress 0
		.amdhsa_shared_vgpr_count 0
		.amdhsa_exception_fp_ieee_invalid_op 0
		.amdhsa_exception_fp_denorm_src 0
		.amdhsa_exception_fp_ieee_div_zero 0
		.amdhsa_exception_fp_ieee_overflow 0
		.amdhsa_exception_fp_ieee_underflow 0
		.amdhsa_exception_fp_ieee_inexact 0
		.amdhsa_exception_int_div_zero 0
	.end_amdhsa_kernel
	.text
.Lfunc_end0:
	.size	bluestein_single_fwd_len2028_dim1_dp_op_CI_CI, .Lfunc_end0-bluestein_single_fwd_len2028_dim1_dp_op_CI_CI
                                        ; -- End function
	.section	.AMDGPU.csdata,"",@progbits
; Kernel info:
; codeLenInByte = 27584
; NumSgprs: 48
; NumVgprs: 256
; ScratchSize: 496
; MemoryBound: 0
; FloatMode: 240
; IeeeMode: 1
; LDSByteSize: 32448 bytes/workgroup (compile time only)
; SGPRBlocks: 5
; VGPRBlocks: 31
; NumSGPRsForWavesPerEU: 48
; NumVGPRsForWavesPerEU: 256
; Occupancy: 5
; WaveLimiterHint : 1
; COMPUTE_PGM_RSRC2:SCRATCH_EN: 1
; COMPUTE_PGM_RSRC2:USER_SGPR: 15
; COMPUTE_PGM_RSRC2:TRAP_HANDLER: 0
; COMPUTE_PGM_RSRC2:TGID_X_EN: 1
; COMPUTE_PGM_RSRC2:TGID_Y_EN: 0
; COMPUTE_PGM_RSRC2:TGID_Z_EN: 0
; COMPUTE_PGM_RSRC2:TIDIG_COMP_CNT: 0
	.text
	.p2alignl 7, 3214868480
	.fill 96, 4, 3214868480
	.type	__hip_cuid_921934a2b043429e,@object ; @__hip_cuid_921934a2b043429e
	.section	.bss,"aw",@nobits
	.globl	__hip_cuid_921934a2b043429e
__hip_cuid_921934a2b043429e:
	.byte	0                               ; 0x0
	.size	__hip_cuid_921934a2b043429e, 1

	.ident	"AMD clang version 19.0.0git (https://github.com/RadeonOpenCompute/llvm-project roc-6.4.0 25133 c7fe45cf4b819c5991fe208aaa96edf142730f1d)"
	.section	".note.GNU-stack","",@progbits
	.addrsig
	.addrsig_sym __hip_cuid_921934a2b043429e
	.amdgpu_metadata
---
amdhsa.kernels:
  - .args:
      - .actual_access:  read_only
        .address_space:  global
        .offset:         0
        .size:           8
        .value_kind:     global_buffer
      - .actual_access:  read_only
        .address_space:  global
        .offset:         8
        .size:           8
        .value_kind:     global_buffer
      - .actual_access:  read_only
        .address_space:  global
        .offset:         16
        .size:           8
        .value_kind:     global_buffer
      - .actual_access:  read_only
        .address_space:  global
        .offset:         24
        .size:           8
        .value_kind:     global_buffer
      - .actual_access:  read_only
        .address_space:  global
        .offset:         32
        .size:           8
        .value_kind:     global_buffer
      - .offset:         40
        .size:           8
        .value_kind:     by_value
      - .address_space:  global
        .offset:         48
        .size:           8
        .value_kind:     global_buffer
      - .address_space:  global
        .offset:         56
        .size:           8
        .value_kind:     global_buffer
      - .address_space:  global
        .offset:         64
        .size:           8
        .value_kind:     global_buffer
      - .address_space:  global
        .offset:         72
        .size:           8
        .value_kind:     global_buffer
      - .offset:         80
        .size:           4
        .value_kind:     by_value
      - .address_space:  global
        .offset:         88
        .size:           8
        .value_kind:     global_buffer
      - .address_space:  global
        .offset:         96
        .size:           8
        .value_kind:     global_buffer
    .group_segment_fixed_size: 32448
    .kernarg_segment_align: 8
    .kernarg_segment_size: 104
    .language:       OpenCL C
    .language_version:
      - 2
      - 0
    .max_flat_workgroup_size: 156
    .name:           bluestein_single_fwd_len2028_dim1_dp_op_CI_CI
    .private_segment_fixed_size: 496
    .sgpr_count:     48
    .sgpr_spill_count: 0
    .symbol:         bluestein_single_fwd_len2028_dim1_dp_op_CI_CI.kd
    .uniform_work_group_size: 1
    .uses_dynamic_stack: false
    .vgpr_count:     256
    .vgpr_spill_count: 123
    .wavefront_size: 32
    .workgroup_processor_mode: 1
amdhsa.target:   amdgcn-amd-amdhsa--gfx1100
amdhsa.version:
  - 1
  - 2
...

	.end_amdgpu_metadata
